;; amdgpu-corpus repo=ROCm/rocFFT kind=compiled arch=gfx950 opt=O3
	.text
	.amdgcn_target "amdgcn-amd-amdhsa--gfx950"
	.amdhsa_code_object_version 6
	.protected	bluestein_single_fwd_len1560_dim1_dp_op_CI_CI ; -- Begin function bluestein_single_fwd_len1560_dim1_dp_op_CI_CI
	.globl	bluestein_single_fwd_len1560_dim1_dp_op_CI_CI
	.p2align	8
	.type	bluestein_single_fwd_len1560_dim1_dp_op_CI_CI,@function
bluestein_single_fwd_len1560_dim1_dp_op_CI_CI: ; @bluestein_single_fwd_len1560_dim1_dp_op_CI_CI
; %bb.0:
	s_load_dwordx4 s[4:7], s[0:1], 0x28
	v_mul_u32_u24_e32 v1, 0x1a5, v0
	v_mov_b32_e32 v177, 0
	v_add_u32_sdwa v180, s2, v1 dst_sel:DWORD dst_unused:UNUSED_PAD src0_sel:DWORD src1_sel:WORD_1
	v_mov_b32_e32 v181, v177
	s_waitcnt lgkmcnt(0)
	v_cmp_gt_u64_e32 vcc, s[4:5], v[180:181]
	s_and_saveexec_b64 s[2:3], vcc
	s_cbranch_execz .LBB0_23
; %bb.1:
	s_load_dwordx2 s[14:15], s[0:1], 0x0
	s_load_dwordx2 s[12:13], s[0:1], 0x38
	s_movk_i32 s2, 0x9c
	v_mul_lo_u16_sdwa v1, v1, s2 dst_sel:DWORD dst_unused:UNUSED_PAD src0_sel:WORD_1 src1_sel:DWORD
	v_sub_u16_e32 v176, v0, v1
	s_movk_i32 s2, 0x78
	v_cmp_gt_u16_e64 s[4:5], s2, v176
	v_lshlrev_b32_e32 v188, 4, v176
	s_and_saveexec_b64 s[2:3], s[4:5]
	s_cbranch_execz .LBB0_3
; %bb.2:
	s_load_dwordx2 s[8:9], s[0:1], 0x18
	v_mov_b32_e32 v0, s6
	v_mov_b32_e32 v1, s7
	;; [unrolled: 1-line block ×4, first 2 shown]
	s_waitcnt lgkmcnt(0)
	s_load_dwordx4 s[8:11], s[8:9], 0x0
	v_lshl_add_u64 v[92:93], s[14:15], 0, v[188:189]
	s_waitcnt lgkmcnt(0)
	v_mad_u64_u32 v[2:3], s[6:7], s10, v180, 0
	v_mad_u64_u32 v[4:5], s[6:7], s8, v176, 0
	v_mov_b32_e32 v6, v3
	v_mov_b32_e32 v8, v5
	v_mad_u64_u32 v[6:7], s[6:7], s11, v180, v[6:7]
	v_mov_b32_e32 v3, v6
	v_mad_u64_u32 v[6:7], s[6:7], s9, v176, v[8:9]
	v_mov_b32_e32 v5, v6
	v_lshl_add_u64 v[0:1], v[2:3], 4, v[0:1]
	v_lshl_add_u64 v[4:5], v[4:5], 4, v[0:1]
	v_mad_u64_u32 v[24:25], s[6:7], s8, v98, v[4:5]
	s_movk_i32 s7, 0x1000
	s_mul_i32 s6, s9, 0x780
	v_add_co_u32_e32 v50, vcc, s7, v92
	v_add_u32_e32 v25, s6, v25
	s_movk_i32 s9, 0x2000
	v_addc_co_u32_e32 v51, vcc, 0, v93, vcc
	v_mad_u64_u32 v[48:49], s[10:11], s8, v98, v[24:25]
	v_add_co_u32_e32 v52, vcc, s9, v92
	s_movk_i32 s10, 0x3000
	s_nop 0
	v_addc_co_u32_e32 v53, vcc, 0, v93, vcc
	global_load_dwordx4 v[0:3], v[4:5], off
	v_add_co_u32_e32 v54, vcc, s10, v92
	global_load_dwordx4 v[4:7], v188, s[14:15]
	global_load_dwordx4 v[8:11], v188, s[14:15] offset:1920
	v_add_u32_e32 v49, s6, v49
	s_movk_i32 s11, 0x4000
	v_addc_co_u32_e32 v55, vcc, 0, v93, vcc
	global_load_dwordx4 v[12:15], v188, s[14:15] offset:3840
	global_load_dwordx4 v[20:23], v[24:25], off
	global_load_dwordx4 v[16:19], v[48:49], off
	v_add_co_u32_e32 v88, vcc, s11, v92
	global_load_dwordx4 v[24:27], v[50:51], off offset:1664
	global_load_dwordx4 v[28:31], v[50:51], off offset:3584
	;; [unrolled: 1-line block ×6, first 2 shown]
	v_mad_u64_u32 v[52:53], s[10:11], s8, v98, v[48:49]
	v_add_u32_e32 v53, s6, v53
	v_mad_u64_u32 v[56:57], s[10:11], s8, v98, v[52:53]
	global_load_dwordx4 v[48:51], v[52:53], off
	v_add_u32_e32 v57, s6, v57
	v_mad_u64_u32 v[60:61], s[10:11], s8, v98, v[56:57]
	global_load_dwordx4 v[52:55], v[56:57], off
	;; [unrolled: 3-line block ×7, first 2 shown]
	v_add_u32_e32 v91, s6, v91
	v_addc_co_u32_e32 v89, vcc, 0, v93, vcc
	global_load_dwordx4 v[76:79], v[90:91], off
	global_load_dwordx4 v[80:83], v[88:89], off offset:896
	global_load_dwordx4 v[84:87], v[88:89], off offset:2816
	s_movk_i32 s7, 0x5000
	v_mad_u64_u32 v[96:97], s[10:11], s8, v98, v[90:91]
	v_add_co_u32_e32 v104, vcc, s7, v92
	v_add_u32_e32 v97, s6, v97
	s_nop 0
	v_addc_co_u32_e32 v105, vcc, 0, v93, vcc
	global_load_dwordx4 v[88:91], v[96:97], off
	global_load_dwordx4 v[92:95], v[104:105], off offset:640
	v_mad_u64_u32 v[106:107], s[8:9], s8, v98, v[96:97]
	v_add_u32_e32 v107, s6, v107
	global_load_dwordx4 v[96:99], v[106:107], off
	global_load_dwordx4 v[100:103], v[104:105], off offset:2560
	s_waitcnt vmcnt(24)
	v_mul_f64 v[104:105], v[2:3], v[6:7]
	v_mul_f64 v[6:7], v[0:1], v[6:7]
	v_fmac_f64_e32 v[104:105], v[0:1], v[4:5]
	v_fma_f64 v[106:107], v[2:3], v[4:5], -v[6:7]
	ds_write_b128 v188, v[104:107]
	s_waitcnt vmcnt(21)
	v_mul_f64 v[0:1], v[22:23], v[10:11]
	v_mul_f64 v[2:3], v[20:21], v[10:11]
	v_fmac_f64_e32 v[0:1], v[20:21], v[8:9]
	v_fma_f64 v[2:3], v[22:23], v[8:9], -v[2:3]
	ds_write_b128 v188, v[0:3] offset:1920
	s_waitcnt vmcnt(20)
	v_mul_f64 v[0:1], v[18:19], v[14:15]
	v_mul_f64 v[2:3], v[16:17], v[14:15]
	v_fmac_f64_e32 v[0:1], v[16:17], v[12:13]
	v_fma_f64 v[2:3], v[18:19], v[12:13], -v[2:3]
	ds_write_b128 v188, v[0:3] offset:3840
	;; [unrolled: 6-line block ×12, first 2 shown]
.LBB0_3:
	s_or_b64 exec, exec, s[2:3]
	s_load_dwordx2 s[2:3], s[0:1], 0x20
	s_load_dwordx2 s[6:7], s[0:1], 0x8
	s_waitcnt lgkmcnt(0)
	s_barrier
	s_waitcnt lgkmcnt(0)
                                        ; implicit-def: $vgpr4_vgpr5
                                        ; implicit-def: $vgpr8_vgpr9
                                        ; implicit-def: $vgpr12_vgpr13
                                        ; implicit-def: $vgpr16_vgpr17
                                        ; implicit-def: $vgpr20_vgpr21
                                        ; implicit-def: $vgpr24_vgpr25
                                        ; implicit-def: $vgpr28_vgpr29
                                        ; implicit-def: $vgpr32_vgpr33
                                        ; implicit-def: $vgpr36_vgpr37
                                        ; implicit-def: $vgpr40_vgpr41
                                        ; implicit-def: $vgpr44_vgpr45
                                        ; implicit-def: $vgpr48_vgpr49
                                        ; implicit-def: $vgpr52_vgpr53
	s_and_saveexec_b64 s[0:1], s[4:5]
	s_cbranch_execz .LBB0_5
; %bb.4:
	ds_read_b128 v[4:7], v188
	ds_read_b128 v[8:11], v188 offset:1920
	ds_read_b128 v[12:15], v188 offset:3840
	;; [unrolled: 1-line block ×12, first 2 shown]
.LBB0_5:
	s_or_b64 exec, exec, s[0:1]
	s_mov_b32 s20, 0x4267c47c
	s_waitcnt lgkmcnt(0)
	v_add_f64 v[72:73], v[10:11], -v[54:55]
	s_mov_b32 s0, 0xe00740e9
	s_mov_b32 s21, 0xbfddbe06
	;; [unrolled: 1-line block ×3, first 2 shown]
	v_add_f64 v[84:85], v[8:9], v[52:53]
	v_add_f64 v[90:91], v[8:9], -v[52:53]
	s_mov_b32 s1, 0x3fec55a7
	v_mul_f64 v[76:77], v[72:73], s[20:21]
	s_mov_b32 s8, 0x1ea71119
	s_mov_b32 s25, 0xbfea55e2
	v_add_f64 v[110:111], v[14:15], -v[50:51]
	v_add_f64 v[74:75], v[10:11], v[54:55]
	v_mul_f64 v[78:79], v[90:91], s[20:21]
	v_fma_f64 v[0:1], s[0:1], v[84:85], v[76:77]
	s_mov_b32 s9, 0x3fe22d96
	s_mov_b32 s16, 0x66966769
	v_add_f64 v[94:95], v[12:13], v[48:49]
	v_add_f64 v[100:101], v[12:13], -v[48:49]
	v_mul_f64 v[80:81], v[110:111], s[24:25]
	v_add_f64 v[0:1], v[4:5], v[0:1]
	v_fma_f64 v[2:3], v[74:75], s[0:1], -v[78:79]
	s_mov_b32 s10, 0xebaa3ed8
	s_mov_b32 s17, 0xbfefc445
	v_add_f64 v[122:123], v[14:15], v[50:51]
	v_mul_f64 v[82:83], v[100:101], s[24:25]
	v_fma_f64 v[56:57], s[8:9], v[94:95], v[80:81]
	v_add_f64 v[144:145], v[18:19], -v[46:47]
	v_add_f64 v[2:3], v[6:7], v[2:3]
	s_mov_b32 s11, 0x3fbedb7d
	v_add_f64 v[0:1], v[56:57], v[0:1]
	v_fma_f64 v[56:57], v[122:123], s[8:9], -v[82:83]
	v_add_f64 v[102:103], v[16:17], v[44:45]
	v_mul_f64 v[86:87], v[144:145], s[16:17]
	v_add_f64 v[114:115], v[16:17], -v[44:45]
	s_mov_b32 s28, 0x2ef20147
	v_add_f64 v[2:3], v[56:57], v[2:3]
	v_add_f64 v[120:121], v[18:19], v[46:47]
	v_fma_f64 v[56:57], s[10:11], v[102:103], v[86:87]
	v_mul_f64 v[88:89], v[114:115], s[16:17]
	s_mov_b32 s22, 0xb2365da1
	s_mov_b32 s29, 0xbfedeba7
	v_add_f64 v[168:169], v[22:23], -v[42:43]
	v_add_f64 v[0:1], v[56:57], v[0:1]
	v_fma_f64 v[56:57], v[120:121], s[10:11], -v[88:89]
	s_mov_b32 s23, 0xbfd6b1d8
	v_add_f64 v[108:109], v[20:21], v[40:41]
	v_mul_f64 v[92:93], v[168:169], s[28:29]
	v_add_f64 v[150:151], v[20:21], -v[40:41]
	s_mov_b32 s30, 0x24c2f84
	v_add_f64 v[2:3], v[56:57], v[2:3]
	v_fma_f64 v[56:57], s[22:23], v[108:109], v[92:93]
	v_add_f64 v[130:131], v[22:23], v[42:43]
	v_mul_f64 v[96:97], v[150:151], s[28:29]
	s_mov_b32 s26, 0xd0032e0c
	s_mov_b32 s31, 0x3fe5384d
	s_mov_b32 s37, 0xbfe5384d
	s_mov_b32 s36, s30
	v_add_f64 v[200:201], v[26:27], -v[38:39]
	v_add_f64 v[0:1], v[56:57], v[0:1]
	v_fma_f64 v[56:57], v[130:131], s[22:23], -v[96:97]
	s_mov_b32 s27, 0xbfe7f3cc
	v_add_f64 v[148:149], v[24:25], v[36:37]
	v_mul_f64 v[98:99], v[200:201], s[36:37]
	v_add_f64 v[178:179], v[24:25], -v[36:37]
	s_mov_b32 s40, 0x4bc48dbf
	v_add_f64 v[2:3], v[56:57], v[2:3]
	v_fma_f64 v[56:57], s[26:27], v[148:149], v[98:99]
	v_add_f64 v[154:155], v[26:27], v[38:39]
	v_mul_f64 v[104:105], v[178:179], s[36:37]
	s_mov_b32 s34, 0x93053d00
	s_mov_b32 s41, 0xbfcea1e5
	v_add_f64 v[216:217], v[30:31], -v[34:35]
	v_add_f64 v[0:1], v[56:57], v[0:1]
	v_fma_f64 v[56:57], v[154:155], s[26:27], -v[104:105]
	s_mov_b32 s35, 0xbfef11f4
	v_add_f64 v[158:159], v[28:29], v[32:33]
	v_mul_f64 v[106:107], v[216:217], s[40:41]
	v_add_f64 v[212:213], v[28:29], -v[32:33]
	v_add_f64 v[2:3], v[56:57], v[2:3]
	v_fma_f64 v[56:57], s[34:35], v[158:159], v[106:107]
	v_add_f64 v[162:163], v[30:31], v[34:35]
	v_mul_f64 v[112:113], v[212:213], s[40:41]
	v_add_f64 v[250:251], v[56:57], v[0:1]
	v_fma_f64 v[0:1], v[162:163], s[34:35], -v[112:113]
	v_mul_f64 v[116:117], v[72:73], s[24:25]
	v_add_f64 v[252:253], v[0:1], v[2:3]
	v_fma_f64 v[0:1], s[8:9], v[84:85], v[116:117]
	v_mul_f64 v[118:119], v[110:111], s[28:29]
	v_add_f64 v[0:1], v[4:5], v[0:1]
	v_fma_f64 v[2:3], s[22:23], v[94:95], v[118:119]
	v_mul_f64 v[136:137], v[90:91], s[24:25]
	v_add_f64 v[0:1], v[2:3], v[0:1]
	v_fma_f64 v[2:3], v[74:75], s[8:9], -v[136:137]
	v_mul_f64 v[140:141], v[100:101], s[28:29]
	v_add_f64 v[2:3], v[6:7], v[2:3]
	v_fma_f64 v[56:57], v[122:123], s[22:23], -v[140:141]
	v_mul_f64 v[128:129], v[144:145], s[40:41]
	v_add_f64 v[2:3], v[56:57], v[2:3]
	v_fma_f64 v[56:57], s[34:35], v[102:103], v[128:129]
	v_mul_f64 v[146:147], v[114:115], s[40:41]
	v_add_f64 v[0:1], v[56:57], v[0:1]
	v_fma_f64 v[56:57], v[120:121], s[34:35], -v[146:147]
	v_mul_f64 v[138:139], v[168:169], s[30:31]
	v_add_f64 v[2:3], v[56:57], v[2:3]
	v_fma_f64 v[56:57], s[26:27], v[108:109], v[138:139]
	v_mul_f64 v[152:153], v[150:151], s[30:31]
	s_mov_b32 s43, 0x3fefc445
	s_mov_b32 s42, s16
	v_add_f64 v[0:1], v[56:57], v[0:1]
	v_fma_f64 v[56:57], v[130:131], s[26:27], -v[152:153]
	v_mul_f64 v[142:143], v[200:201], s[42:43]
	v_add_f64 v[2:3], v[56:57], v[2:3]
	v_fma_f64 v[56:57], s[10:11], v[148:149], v[142:143]
	v_mul_f64 v[160:161], v[178:179], s[42:43]
	s_mov_b32 s39, 0x3fddbe06
	s_mov_b32 s38, s20
	v_add_f64 v[0:1], v[56:57], v[0:1]
	v_fma_f64 v[56:57], v[154:155], s[10:11], -v[160:161]
	v_mul_f64 v[156:157], v[216:217], s[38:39]
	v_add_f64 v[2:3], v[56:57], v[2:3]
	v_fma_f64 v[56:57], s[0:1], v[158:159], v[156:157]
	v_mul_f64 v[164:165], v[212:213], s[38:39]
	v_add_f64 v[124:125], v[56:57], v[0:1]
	v_fma_f64 v[0:1], v[162:163], s[0:1], -v[164:165]
	v_mul_f64 v[170:171], v[72:73], s[16:17]
	v_add_f64 v[126:127], v[0:1], v[2:3]
	v_fma_f64 v[0:1], s[10:11], v[84:85], v[170:171]
	v_mul_f64 v[174:175], v[110:111], s[40:41]
	v_add_f64 v[0:1], v[4:5], v[0:1]
	v_fma_f64 v[2:3], s[34:35], v[94:95], v[174:175]
	v_mul_f64 v[184:185], v[90:91], s[16:17]
	v_add_f64 v[0:1], v[2:3], v[0:1]
	v_fma_f64 v[2:3], v[74:75], s[10:11], -v[184:185]
	v_mul_f64 v[196:197], v[100:101], s[40:41]
	s_mov_b32 s45, 0x3fedeba7
	s_mov_b32 s44, s28
	v_add_f64 v[2:3], v[6:7], v[2:3]
	v_fma_f64 v[56:57], v[122:123], s[34:35], -v[196:197]
	v_mul_f64 v[182:183], v[144:145], s[44:45]
	v_add_f64 v[2:3], v[56:57], v[2:3]
	v_fma_f64 v[56:57], s[22:23], v[102:103], v[182:183]
	v_mul_f64 v[198:199], v[114:115], s[44:45]
	v_add_f64 v[0:1], v[56:57], v[0:1]
	v_fma_f64 v[56:57], v[120:121], s[22:23], -v[198:199]
	v_mul_f64 v[194:195], v[168:169], s[38:39]
	v_add_f64 v[2:3], v[56:57], v[2:3]
	v_fma_f64 v[56:57], s[0:1], v[108:109], v[194:195]
	v_mul_f64 v[206:207], v[150:151], s[38:39]
	;; [unrolled: 6-line block ×3, first 2 shown]
	v_add_f64 v[0:1], v[56:57], v[0:1]
	v_fma_f64 v[56:57], v[154:155], s[8:9], -v[210:211]
	v_mul_f64 v[202:203], v[216:217], s[36:37]
	v_add_f64 v[56:57], v[56:57], v[2:3]
	v_fma_f64 v[2:3], s[26:27], v[158:159], v[202:203]
	v_add_f64 v[132:133], v[2:3], v[0:1]
	v_mul_f64 v[2:3], v[212:213], s[36:37]
	v_fma_f64 v[0:1], v[162:163], s[26:27], -v[2:3]
	v_add_f64 v[134:135], v[0:1], v[56:57]
	v_mul_lo_u16_e32 v189, 13, v176
	s_barrier
	s_and_saveexec_b64 s[18:19], s[4:5]
	s_cbranch_execz .LBB0_7
; %bb.6:
	v_mul_f64 v[222:223], v[74:75], s[34:35]
	s_mov_b32 s47, 0x3fcea1e5
	s_mov_b32 s46, s40
	v_mul_f64 v[218:219], v[122:123], s[0:1]
	v_fma_f64 v[224:225], s[46:47], v[90:91], v[222:223]
	v_mul_f64 v[236:237], v[72:73], s[40:41]
	v_mul_f64 v[68:69], v[120:121], s[26:27]
	v_fma_f64 v[220:221], s[20:21], v[100:101], v[218:219]
	v_add_f64 v[224:225], v[6:7], v[224:225]
	v_mul_f64 v[232:233], v[110:111], s[38:39]
	v_fma_f64 v[238:239], s[34:35], v[84:85], v[236:237]
	v_mul_f64 v[64:65], v[130:131], s[8:9]
	v_fma_f64 v[70:71], s[30:31], v[114:115], v[68:69]
	v_add_f64 v[220:221], v[220:221], v[224:225]
	s_mov_b32 s49, 0x3fea55e2
	s_mov_b32 s48, s24
	v_mul_f64 v[228:229], v[144:145], s[36:37]
	v_fma_f64 v[234:235], s[0:1], v[94:95], v[232:233]
	v_add_f64 v[238:239], v[4:5], v[238:239]
	v_mul_f64 v[62:63], v[154:155], s[22:23]
	v_fma_f64 v[66:67], s[24:25], v[150:151], v[64:65]
	v_add_f64 v[70:71], v[70:71], v[220:221]
	;; [unrolled: 3-line block ×5, first 2 shown]
	v_fma_f64 v[56:57], s[16:17], v[212:213], v[60:61]
	v_add_f64 v[58:59], v[58:59], v[66:67]
	v_mul_f64 v[66:67], v[216:217], s[42:43]
	v_fma_f64 v[220:221], s[22:23], v[148:149], v[70:71]
	v_add_f64 v[226:227], v[226:227], v[230:231]
	v_add_f64 v[58:59], v[56:57], v[58:59]
	v_fma_f64 v[56:57], s[10:11], v[158:159], v[66:67]
	v_add_f64 v[220:221], v[220:221], v[226:227]
	v_fmac_f64_e32 v[222:223], s[40:41], v[90:91]
	v_add_f64 v[56:57], v[56:57], v[220:221]
	v_fmac_f64_e32 v[218:219], s[38:39], v[100:101]
	;; [unrolled: 2-line block ×5, first 2 shown]
	v_add_f64 v[64:65], v[64:65], v[68:69]
	v_fma_f64 v[218:219], v[84:85], s[34:35], -v[236:237]
	v_mul_f64 v[230:231], v[74:75], s[26:27]
	v_add_f64 v[62:63], v[62:63], v[64:65]
	v_fma_f64 v[64:65], v[148:149], s[22:23], -v[70:71]
	v_fma_f64 v[70:71], v[94:95], s[0:1], -v[232:233]
	v_add_f64 v[218:219], v[4:5], v[218:219]
	v_mul_f64 v[226:227], v[122:123], s[10:11]
	v_fma_f64 v[232:233], s[30:31], v[90:91], v[230:231]
	v_fmac_f64_e32 v[60:61], s[42:43], v[212:213]
	v_fma_f64 v[68:69], v[102:103], s[26:27], -v[228:229]
	v_add_f64 v[70:71], v[70:71], v[218:219]
	v_mul_f64 v[222:223], v[120:121], s[8:9]
	v_fma_f64 v[228:229], s[16:17], v[100:101], v[226:227]
	v_add_f64 v[232:233], v[6:7], v[232:233]
	v_add_f64 v[62:63], v[60:61], v[62:63]
	v_fma_f64 v[60:61], v[158:159], s[10:11], -v[66:67]
	v_fma_f64 v[66:67], v[108:109], s[8:9], -v[224:225]
	v_add_f64 v[68:69], v[68:69], v[70:71]
	v_mul_f64 v[218:219], v[130:131], s[34:35]
	v_fma_f64 v[224:225], s[48:49], v[114:115], v[222:223]
	v_add_f64 v[228:229], v[228:229], v[232:233]
	v_add_f64 v[66:67], v[66:67], v[68:69]
	v_mul_f64 v[70:71], v[154:155], s[0:1]
	v_fma_f64 v[220:221], s[40:41], v[150:151], v[218:219]
	v_add_f64 v[224:225], v[224:225], v[228:229]
	;; [unrolled: 4-line block ×3, first 2 shown]
	v_mul_f64 v[236:237], v[72:73], s[36:37]
	v_fmac_f64_e32 v[230:231], s[36:37], v[90:91]
	v_add_f64 v[60:61], v[60:61], v[64:65]
	v_fma_f64 v[64:65], s[44:45], v[212:213], v[68:69]
	v_add_f64 v[66:67], v[66:67], v[220:221]
	v_mul_f64 v[234:235], v[110:111], s[42:43]
	v_fma_f64 v[238:239], s[26:27], v[84:85], v[236:237]
	v_fmac_f64_e32 v[226:227], s[42:43], v[100:101]
	v_add_f64 v[230:231], v[6:7], v[230:231]
	v_add_f64 v[66:67], v[64:65], v[66:67]
	v_mul_f64 v[232:233], v[144:145], s[24:25]
	v_fma_f64 v[64:65], s[10:11], v[94:95], v[234:235]
	v_add_f64 v[238:239], v[4:5], v[238:239]
	v_add_f64 v[226:227], v[226:227], v[230:231]
	v_fmac_f64_e32 v[222:223], s[24:25], v[114:115]
	v_mul_f64 v[228:229], v[168:169], s[46:47]
	v_add_f64 v[64:65], v[64:65], v[238:239]
	v_fma_f64 v[238:239], s[8:9], v[102:103], v[232:233]
	v_add_f64 v[222:223], v[222:223], v[226:227]
	v_fmac_f64_e32 v[218:219], s[46:47], v[150:151]
	v_mul_f64 v[224:225], v[200:201], s[38:39]
	v_add_f64 v[64:65], v[238:239], v[64:65]
	v_fma_f64 v[238:239], s[34:35], v[108:109], v[228:229]
	;; [unrolled: 5-line block ×3, first 2 shown]
	v_fmac_f64_e32 v[68:69], s[28:29], v[212:213]
	v_add_f64 v[70:71], v[70:71], v[218:219]
	v_add_f64 v[64:65], v[238:239], v[64:65]
	v_fma_f64 v[238:239], s[22:23], v[158:159], v[220:221]
	v_add_f64 v[70:71], v[68:69], v[70:71]
	v_fma_f64 v[68:69], v[158:159], s[22:23], -v[220:221]
	v_fma_f64 v[220:221], v[108:109], s[34:35], -v[228:229]
	;; [unrolled: 1-line block ×3, first 2 shown]
	v_mul_f64 v[236:237], v[74:75], s[22:23]
	v_mov_b64_e32 v[246:247], v[176:177]
	v_mul_f64 v[176:177], v[74:75], s[0:1]
	v_mul_f64 v[204:205], v[74:75], s[8:9]
	;; [unrolled: 1-line block ×3, first 2 shown]
	v_mov_b32_e32 v248, v180
	v_mul_f64 v[180:181], v[122:123], s[8:9]
	v_mul_f64 v[208:209], v[122:123], s[22:23]
	;; [unrolled: 1-line block ×3, first 2 shown]
	v_fma_f64 v[218:219], v[148:149], s[0:1], -v[224:225]
	v_fma_f64 v[224:225], v[94:95], s[10:11], -v[234:235]
	v_add_f64 v[228:229], v[4:5], v[228:229]
	v_mul_f64 v[122:123], v[122:123], s[26:27]
	v_fma_f64 v[74:75], s[44:45], v[90:91], v[236:237]
	v_fma_f64 v[222:223], v[102:103], s[8:9], -v[232:233]
	v_add_f64 v[224:225], v[224:225], v[228:229]
	v_mul_f64 v[232:233], v[120:121], s[0:1]
	v_fma_f64 v[234:235], s[36:37], v[100:101], v[122:123]
	v_add_f64 v[74:75], v[6:7], v[74:75]
	v_add_f64 v[222:223], v[222:223], v[224:225]
	v_mul_f64 v[228:229], v[130:131], s[10:11]
	v_add_f64 v[74:75], v[234:235], v[74:75]
	v_fma_f64 v[234:235], s[20:21], v[114:115], v[232:233]
	v_add_f64 v[220:221], v[220:221], v[222:223]
	v_mul_f64 v[222:223], v[154:155], s[34:35]
	v_add_f64 v[74:75], v[234:235], v[74:75]
	v_fma_f64 v[234:235], s[42:43], v[150:151], v[228:229]
	v_add_f64 v[218:219], v[218:219], v[220:221]
	v_fma_f64 v[224:225], s[40:41], v[178:179], v[222:223]
	v_add_f64 v[74:75], v[234:235], v[74:75]
	v_add_f64 v[68:69], v[68:69], v[218:219]
	v_mul_f64 v[218:219], v[162:163], s[8:9]
	v_add_f64 v[74:75], v[224:225], v[74:75]
	v_mul_f64 v[224:225], v[72:73], s[28:29]
	v_mul_f64 v[166:167], v[84:85], s[0:1]
	;; [unrolled: 1-line block ×4, first 2 shown]
	v_fma_f64 v[220:221], s[24:25], v[212:213], v[218:219]
	v_mul_f64 v[110:111], v[110:111], s[30:31]
	v_fma_f64 v[72:73], s[22:23], v[84:85], v[224:225]
	v_fma_f64 v[84:85], v[84:85], s[22:23], -v[224:225]
	v_mul_f64 v[172:173], v[94:95], s[8:9]
	v_mul_f64 v[190:191], v[94:95], s[22:23]
	v_add_f64 v[64:65], v[238:239], v[64:65]
	v_mul_f64 v[238:239], v[94:95], s[34:35]
	v_add_f64 v[74:75], v[220:221], v[74:75]
	v_mul_f64 v[144:145], v[144:145], s[38:39]
	v_fma_f64 v[220:221], s[26:27], v[94:95], v[110:111]
	v_add_f64 v[72:73], v[4:5], v[72:73]
	v_fma_f64 v[94:95], v[94:95], s[26:27], -v[110:111]
	v_add_f64 v[84:85], v[4:5], v[84:85]
	v_mul_f64 v[168:169], v[168:169], s[16:17]
	v_add_f64 v[72:73], v[220:221], v[72:73]
	v_fma_f64 v[220:221], s[0:1], v[102:103], v[144:145]
	v_fmac_f64_e32 v[228:229], s[16:17], v[150:151]
	v_mul_f64 v[150:151], v[130:131], s[22:23]
	v_mul_f64 v[242:243], v[130:131], s[26:27]
	v_fmac_f64_e32 v[236:237], s[28:29], v[90:91]
	v_mul_f64 v[130:131], v[130:131], s[0:1]
	v_fma_f64 v[144:145], v[102:103], s[0:1], -v[144:145]
	v_add_f64 v[84:85], v[94:95], v[84:85]
	v_mul_f64 v[226:227], v[120:121], s[10:11]
	v_add_f64 v[72:73], v[220:221], v[72:73]
	v_fma_f64 v[220:221], s[10:11], v[108:109], v[168:169]
	v_mul_f64 v[234:235], v[120:121], s[34:35]
	v_mul_f64 v[120:121], v[120:121], s[22:23]
	v_fmac_f64_e32 v[222:223], s[46:47], v[178:179]
	v_mul_f64 v[178:179], v[108:109], s[22:23]
	v_fmac_f64_e32 v[232:233], s[38:39], v[114:115]
	;; [unrolled: 2-line block ×3, first 2 shown]
	v_mul_f64 v[90:91], v[108:109], s[0:1]
	v_add_f64 v[100:101], v[6:7], v[236:237]
	v_fma_f64 v[108:109], v[108:109], s[10:11], -v[168:169]
	v_add_f64 v[84:85], v[144:145], v[84:85]
	v_add_f64 v[94:95], v[206:207], v[130:131]
	;; [unrolled: 1-line block ×8, first 2 shown]
	v_mul_f64 v[200:201], v[200:201], s[46:47]
	v_add_f64 v[100:101], v[232:233], v[100:101]
	v_add_f64 v[120:121], v[120:121], v[130:131]
	v_add_f64 v[0:1], v[0:1], -v[170:171]
	v_mul_f64 v[216:217], v[216:217], s[48:49]
	v_add_f64 v[72:73], v[220:221], v[72:73]
	v_fma_f64 v[220:221], s[34:35], v[148:149], v[200:201]
	v_fmac_f64_e32 v[218:219], s[48:49], v[212:213]
	v_mul_f64 v[212:213], v[102:103], s[22:23]
	v_add_f64 v[100:101], v[228:229], v[100:101]
	v_fma_f64 v[200:201], v[148:149], s[34:35], -v[200:201]
	v_add_f64 v[108:109], v[108:109], v[120:121]
	v_add_f64 v[120:121], v[238:239], -v[174:175]
	v_add_f64 v[0:1], v[4:5], v[0:1]
	v_add_f64 v[72:73], v[220:221], v[72:73]
	v_fma_f64 v[220:221], s[8:9], v[158:159], v[216:217]
	v_mul_f64 v[232:233], v[154:155], s[26:27]
	v_add_f64 v[100:101], v[222:223], v[100:101]
	v_mul_f64 v[222:223], v[154:155], s[10:11]
	v_mul_f64 v[154:155], v[154:155], s[8:9]
	v_fma_f64 v[216:217], v[158:159], s[8:9], -v[216:217]
	v_add_f64 v[84:85], v[200:201], v[84:85]
	v_add_f64 v[94:95], v[94:95], v[108:109]
	v_add_f64 v[108:109], v[212:213], -v[182:183]
	v_add_f64 v[0:1], v[120:121], v[0:1]
	v_mul_f64 v[230:231], v[102:103], s[10:11]
	v_add_f64 v[72:73], v[220:221], v[72:73]
	v_mul_f64 v[220:221], v[102:103], s[34:35]
	v_mul_f64 v[122:123], v[148:149], s[26:27]
	;; [unrolled: 1-line block ×7, first 2 shown]
	v_add_f64 v[102:103], v[218:219], v[100:101]
	v_add_f64 v[100:101], v[216:217], v[84:85]
	;; [unrolled: 1-line block ×3, first 2 shown]
	v_add_f64 v[90:91], v[90:91], -v[194:195]
	v_add_f64 v[0:1], v[108:109], v[0:1]
	v_mul_f64 v[168:169], v[158:159], s[34:35]
	v_mul_f64 v[244:245], v[158:159], s[0:1]
	v_mul_f64 v[158:159], v[158:159], s[26:27]
	v_add_f64 v[2:3], v[2:3], v[162:163]
	v_add_f64 v[84:85], v[84:85], v[94:95]
	v_add_f64 v[94:95], v[148:149], -v[192:193]
	v_add_f64 v[0:1], v[90:91], v[0:1]
	v_add_f64 v[2:3], v[2:3], v[84:85]
	v_add_f64 v[84:85], v[158:159], -v[202:203]
	v_add_f64 v[0:1], v[94:95], v[0:1]
	v_add_f64 v[120:121], v[136:137], v[204:205]
	;; [unrolled: 1-line block ×6, first 2 shown]
	v_add_f64 v[116:117], v[186:187], -v[116:117]
	v_add_f64 v[78:79], v[78:79], v[176:177]
	v_add_f64 v[76:77], v[166:167], -v[76:77]
	v_add_f64 v[108:109], v[146:147], v[234:235]
	v_add_f64 v[110:111], v[110:111], v[120:121]
	;; [unrolled: 1-line block ×16, first 2 shown]
	v_add_f64 v[94:95], v[114:115], -v[138:139]
	v_add_f64 v[114:115], v[190:191], -v[118:119]
	v_add_f64 v[6:7], v[6:7], v[22:23]
	v_add_f64 v[4:5], v[4:5], v[20:21]
	v_add_f64 v[108:109], v[220:221], -v[128:129]
	v_add_f64 v[114:115], v[114:115], v[116:117]
	v_add_f64 v[6:7], v[6:7], v[26:27]
	;; [unrolled: 1-line block ×8, first 2 shown]
	v_add_f64 v[90:91], v[228:229], -v[142:143]
	v_add_f64 v[94:95], v[94:95], v[108:109]
	v_add_f64 v[88:89], v[88:89], v[226:227]
	;; [unrolled: 1-line block ×5, first 2 shown]
	v_add_f64 v[84:85], v[244:245], -v[156:157]
	v_add_f64 v[90:91], v[90:91], v[94:95]
	v_add_f64 v[94:95], v[96:97], v[150:151]
	v_add_f64 v[78:79], v[88:89], v[78:79]
	v_add_f64 v[80:81], v[172:173], -v[80:81]
	v_add_f64 v[6:7], v[6:7], v[38:39]
	v_add_f64 v[4:5], v[4:5], v[36:37]
	v_add_f64 v[108:109], v[84:85], v[90:91]
	v_add_f64 v[90:91], v[104:105], v[232:233]
	v_add_f64 v[78:79], v[94:95], v[78:79]
	v_add_f64 v[86:87], v[230:231], -v[86:87]
	v_add_f64 v[76:77], v[80:81], v[76:77]
	v_add_f64 v[6:7], v[6:7], v[42:43]
	;; [unrolled: 6-line block ×3, first 2 shown]
	v_add_f64 v[4:5], v[4:5], v[44:45]
	v_add_f64 v[78:79], v[84:85], v[78:79]
	v_add_f64 v[84:85], v[122:123], -v[98:99]
	v_add_f64 v[76:77], v[88:89], v[76:77]
	v_add_f64 v[6:7], v[6:7], v[50:51]
	;; [unrolled: 1-line block ×3, first 2 shown]
	v_mov_b32_e32 v180, v248
	v_mov_b64_e32 v[176:177], v[246:247]
	v_add_f64 v[82:83], v[168:169], -v[106:107]
	v_add_f64 v[76:77], v[84:85], v[76:77]
	v_add_f64 v[6:7], v[6:7], v[54:55]
	;; [unrolled: 1-line block ×3, first 2 shown]
	v_lshlrev_b32_e32 v8, 4, v189
	v_add_f64 v[76:77], v[82:83], v[76:77]
	ds_write_b128 v8, v[4:7]
	ds_write_b128 v8, v[76:79] offset:16
	ds_write_b128 v8, v[108:111] offset:32
	;; [unrolled: 1-line block ×12, first 2 shown]
.LBB0_7:
	s_or_b64 exec, exec, s[18:19]
	s_mov_b64 s[0:1], 0x9c
	v_lshl_add_u64 v[96:97], v[176:177], 0, s[0:1]
	s_mov_b64 s[0:1], 0x138
	v_lshl_add_u64 v[82:83], v[176:177], 0, s[0:1]
	;; [unrolled: 2-line block ×4, first 2 shown]
	s_movk_i32 s0, 0x4f
	v_mul_lo_u16_sdwa v0, v176, s0 dst_sel:DWORD dst_unused:UNUSED_PAD src0_sel:BYTE_0 src1_sel:DWORD
	v_lshrrev_b16_e32 v1, 10, v0
	s_movk_i32 s0, 0x4ec5
	v_mul_lo_u16_e32 v2, 13, v1
	v_mul_u32_u24_sdwa v21, v96, s0 dst_sel:DWORD dst_unused:UNUSED_PAD src0_sel:WORD_0 src1_sel:DWORD
	v_sub_u16_e32 v2, v176, v2
	v_lshrrev_b32_e32 v22, 18, v21
	v_and_b32_e32 v20, 0xff, v2
	v_mul_lo_u16_e32 v3, 13, v22
	v_mul_u32_u24_sdwa v41, v82, s0 dst_sel:DWORD dst_unused:UNUSED_PAD src0_sel:WORD_0 src1_sel:DWORD
	v_lshlrev_b32_e32 v2, 4, v20
	v_sub_u16_e32 v23, v96, v3
	v_lshrrev_b32_e32 v68, 18, v41
	v_mul_u32_u24_sdwa v70, v80, s0 dst_sel:DWORD dst_unused:UNUSED_PAD src0_sel:WORD_0 src1_sel:DWORD
	s_load_dwordx4 s[8:11], s[2:3], 0x0
	s_waitcnt lgkmcnt(0)
	s_barrier
	v_lshlrev_b32_e32 v3, 4, v23
	global_load_dwordx4 v[76:79], v2, s[6:7]
	global_load_dwordx4 v[182:185], v3, s[6:7]
	v_mul_lo_u16_e32 v2, 13, v68
	v_lshrrev_b32_e32 v71, 18, v70
	v_sub_u16_e32 v69, v82, v2
	v_mul_lo_u16_e32 v3, 13, v71
	v_lshlrev_b32_e32 v2, 4, v69
	v_sub_u16_e32 v72, v80, v3
	v_lshlrev_b32_e32 v3, 4, v72
	global_load_dwordx4 v[88:91], v2, s[6:7]
	global_load_dwordx4 v[84:87], v3, s[6:7]
	v_mul_u32_u24_sdwa v73, v40, s0 dst_sel:DWORD dst_unused:UNUSED_PAD src0_sel:WORD_0 src1_sel:DWORD
	v_lshrrev_b32_e32 v74, 18, v73
	v_mul_lo_u16_e32 v2, 13, v74
	v_sub_u16_e32 v75, v40, v2
	v_lshlrev_b32_e32 v2, 4, v75
	global_load_dwordx4 v[92:95], v2, s[6:7]
	v_mov_b32_e32 v2, 4
	v_lshlrev_b32_sdwa v210, v2, v176 dst_sel:DWORD dst_unused:UNUSED_PAD src0_sel:DWORD src1_sel:WORD_0
	ds_read_b128 v[2:5], v210 offset:12480
	ds_read_b128 v[6:9], v210
	ds_read_b128 v[10:13], v210 offset:2496
	ds_read_b128 v[24:27], v210 offset:14976
	;; [unrolled: 1-line block ×8, first 2 shown]
	v_mul_u32_u24_e32 v1, 26, v1
	v_add_lshl_u32 v178, v1, v20, 4
	v_mad_legacy_u16 v1, v22, 26, v23
	v_lshlrev_b32_e32 v179, 4, v1
	v_mad_legacy_u16 v1, v68, 26, v69
	v_lshlrev_b32_e32 v181, 4, v1
	;; [unrolled: 2-line block ×3, first 2 shown]
	v_mad_legacy_u16 v1, v74, 26, v75
	s_waitcnt lgkmcnt(0)
	s_barrier
	v_lshrrev_b32_e32 v21, 19, v21
	v_lshrrev_b32_e32 v23, 19, v41
	s_movk_i32 s0, 0x90
	s_mov_b32 s18, 0x134454ff
	s_mov_b32 s19, 0x3fee6f0e
	;; [unrolled: 1-line block ×10, first 2 shown]
	s_waitcnt vmcnt(4)
	v_mul_f64 v[14:15], v[4:5], v[78:79]
	v_mul_f64 v[16:17], v[2:3], v[78:79]
	s_waitcnt vmcnt(3)
	v_mul_f64 v[18:19], v[26:27], v[184:185]
	v_mul_f64 v[54:55], v[24:25], v[184:185]
	v_fma_f64 v[2:3], v[2:3], v[76:77], -v[14:15]
	v_fmac_f64_e32 v[16:17], v[4:5], v[76:77]
	v_fma_f64 v[14:15], v[24:25], v[182:183], -v[18:19]
	v_fmac_f64_e32 v[54:55], v[26:27], v[182:183]
	s_waitcnt vmcnt(2)
	v_mul_f64 v[56:57], v[30:31], v[90:91]
	v_mul_f64 v[58:59], v[28:29], v[90:91]
	s_waitcnt vmcnt(1)
	v_mul_f64 v[60:61], v[48:49], v[86:87]
	v_mul_f64 v[62:63], v[46:47], v[86:87]
	v_fma_f64 v[18:19], v[28:29], v[88:89], -v[56:57]
	v_fmac_f64_e32 v[58:59], v[30:31], v[88:89]
	v_fma_f64 v[46:47], v[46:47], v[84:85], -v[60:61]
	v_fmac_f64_e32 v[62:63], v[48:49], v[84:85]
	v_add_f64 v[2:3], v[6:7], -v[2:3]
	v_add_f64 v[4:5], v[8:9], -v[16:17]
	;; [unrolled: 1-line block ×8, first 2 shown]
	v_fma_f64 v[6:7], v[6:7], 2.0, -v[2:3]
	v_fma_f64 v[8:9], v[8:9], 2.0, -v[4:5]
	;; [unrolled: 1-line block ×8, first 2 shown]
	ds_write_b128 v178, v[6:9]
	ds_write_b128 v178, v[2:5] offset:208
	ds_write_b128 v179, v[10:13]
	ds_write_b128 v179, v[24:27] offset:208
	;; [unrolled: 2-line block ×4, first 2 shown]
	v_lshlrev_b32_e32 v36, 4, v1
	v_lshrrev_b16_e32 v1, 11, v0
	s_waitcnt vmcnt(0)
	v_mul_f64 v[64:65], v[52:53], v[94:95]
	v_mul_f64 v[66:67], v[50:51], v[94:95]
	v_mul_lo_u16_e32 v2, 26, v1
	v_fma_f64 v[50:51], v[50:51], v[92:93], -v[64:65]
	v_fmac_f64_e32 v[66:67], v[52:53], v[92:93]
	v_sub_u16_e32 v2, v176, v2
	v_add_f64 v[50:51], v[42:43], -v[50:51]
	v_add_f64 v[52:53], v[44:45], -v[66:67]
	v_and_b32_e32 v20, 0xff, v2
	v_mul_lo_u16_e32 v3, 26, v21
	v_accvgpr_write_b32 a8, v76
	v_fma_f64 v[42:43], v[42:43], 2.0, -v[50:51]
	v_fma_f64 v[44:45], v[44:45], 2.0, -v[52:53]
	v_lshlrev_b32_e32 v2, 4, v20
	v_sub_u16_e32 v22, v96, v3
	v_accvgpr_write_b32 a9, v77
	v_accvgpr_write_b32 a10, v78
	;; [unrolled: 1-line block ×3, first 2 shown]
	ds_write_b128 v36, v[42:45]
	ds_write_b128 v36, v[50:53] offset:208
	s_waitcnt lgkmcnt(0)
	s_barrier
	v_lshlrev_b32_e32 v3, 4, v22
	global_load_dwordx4 v[76:79], v2, s[6:7] offset:208
	global_load_dwordx4 v[30:33], v3, s[6:7] offset:208
	v_mul_lo_u16_e32 v2, 26, v23
	v_sub_u16_e32 v24, v82, v2
	v_accvgpr_write_b32 a12, v84
	v_lshlrev_b32_e32 v2, 4, v24
	v_lshrrev_b32_e32 v25, 19, v70
	v_accvgpr_write_b32 a13, v85
	v_accvgpr_write_b32 a14, v86
	;; [unrolled: 1-line block ×3, first 2 shown]
	global_load_dwordx4 v[84:87], v2, s[6:7] offset:208
	v_mul_lo_u16_e32 v2, 26, v25
	v_sub_u16_e32 v26, v80, v2
	v_accvgpr_write_b32 a16, v88
	v_lshlrev_b32_e32 v2, 4, v26
	v_lshrrev_b32_e32 v27, 19, v73
	v_accvgpr_write_b32 a17, v89
	v_accvgpr_write_b32 a18, v90
	;; [unrolled: 1-line block ×3, first 2 shown]
	global_load_dwordx4 v[88:91], v2, s[6:7] offset:208
	v_mul_lo_u16_e32 v2, 26, v27
	v_sub_u16_e32 v28, v40, v2
	v_lshlrev_b32_e32 v2, 4, v28
	global_load_dwordx4 v[38:41], v2, s[6:7] offset:208
	ds_read_b128 v[2:5], v210 offset:12480
	ds_read_b128 v[6:9], v210
	ds_read_b128 v[10:13], v210 offset:2496
	ds_read_b128 v[44:47], v210 offset:14976
	;; [unrolled: 1-line block ×8, first 2 shown]
	v_mul_u32_u24_e32 v1, 52, v1
	v_add_lshl_u32 v42, v1, v20, 4
	v_mad_legacy_u16 v1, v21, 52, v22
	v_lshlrev_b32_e32 v43, 4, v1
	v_mad_legacy_u16 v1, v23, 52, v24
	v_lshlrev_b32_e32 v187, 4, v1
	;; [unrolled: 2-line block ×3, first 2 shown]
	v_lshrrev_b16_e32 v20, 12, v0
	s_waitcnt lgkmcnt(0)
	s_barrier
	v_accvgpr_write_b32 a48, v1
	v_mul_lo_u16_e32 v0, 52, v20
	v_sub_u16_e32 v0, v176, v0
	v_and_b32_e32 v21, 0xff, v0
	v_accvgpr_write_b32 a20, v92
	v_accvgpr_write_b32 a21, v93
	;; [unrolled: 1-line block ×4, first 2 shown]
	s_waitcnt vmcnt(4)
	v_mul_f64 v[14:15], v[4:5], v[78:79]
	v_mul_f64 v[16:17], v[2:3], v[78:79]
	s_waitcnt vmcnt(3)
	v_mul_f64 v[18:19], v[46:47], v[32:33]
	v_accvgpr_write_b32 a32, v76
	v_mul_f64 v[72:73], v[44:45], v[32:33]
	v_fma_f64 v[2:3], v[2:3], v[76:77], -v[14:15]
	v_accvgpr_write_b32 a33, v77
	v_accvgpr_write_b32 a34, v78
	;; [unrolled: 1-line block ×3, first 2 shown]
	v_fmac_f64_e32 v[16:17], v[4:5], v[76:77]
	s_waitcnt vmcnt(2)
	v_mul_f64 v[74:75], v[50:51], v[86:87]
	v_fma_f64 v[14:15], v[44:45], v[30:31], -v[18:19]
	v_fma_f64 v[18:19], v[48:49], v[84:85], -v[74:75]
	v_mul_f64 v[74:75], v[48:49], v[86:87]
	v_fmac_f64_e32 v[72:73], v[46:47], v[30:31]
	v_accvgpr_write_b32 a36, v84
	v_fmac_f64_e32 v[74:75], v[50:51], v[84:85]
	v_accvgpr_write_b32 a37, v85
	v_accvgpr_write_b32 a38, v86
	s_waitcnt vmcnt(1)
	v_mul_f64 v[4:5], v[66:67], v[90:91]
	v_mul_f64 v[78:79], v[64:65], v[90:91]
	v_fma_f64 v[76:77], v[64:65], v[88:89], -v[4:5]
	v_fmac_f64_e32 v[78:79], v[66:67], v[88:89]
	s_waitcnt vmcnt(0)
	v_mul_f64 v[4:5], v[70:71], v[40:41]
	v_accvgpr_write_b32 a39, v87
	v_fma_f64 v[84:85], v[68:69], v[38:39], -v[4:5]
	v_mul_f64 v[86:87], v[68:69], v[40:41]
	v_add_f64 v[2:3], v[6:7], -v[2:3]
	v_add_f64 v[4:5], v[8:9], -v[16:17]
	;; [unrolled: 1-line block ×8, first 2 shown]
	v_fmac_f64_e32 v[86:87], v[70:71], v[38:39]
	v_fma_f64 v[6:7], v[6:7], 2.0, -v[2:3]
	v_fma_f64 v[8:9], v[8:9], 2.0, -v[4:5]
	;; [unrolled: 1-line block ×8, first 2 shown]
	v_add_f64 v[68:69], v[60:61], -v[84:85]
	v_add_f64 v[70:71], v[62:63], -v[86:87]
	ds_write_b128 v42, v[6:9]
	ds_write_b128 v42, v[2:5] offset:416
	ds_write_b128 v43, v[10:13]
	ds_write_b128 v43, v[44:47] offset:416
	;; [unrolled: 2-line block ×4, first 2 shown]
	v_mad_legacy_u16 v1, v27, 52, v28
	v_fma_f64 v[60:61], v[60:61], 2.0, -v[68:69]
	v_fma_f64 v[62:63], v[62:63], 2.0, -v[70:71]
	v_lshlrev_b32_e32 v1, 4, v1
	ds_write_b128 v1, v[60:63]
	v_accvgpr_write_b32 a49, v1
	ds_write_b128 v1, v[68:71] offset:416
	v_mov_b64_e32 v[0:1], s[6:7]
	v_mad_u64_u32 v[0:1], s[0:1], v21, s0, v[0:1]
	s_waitcnt lgkmcnt(0)
	s_barrier
	global_load_dwordx4 v[56:59], v[0:1], off offset:624
	global_load_dwordx4 v[52:55], v[0:1], off offset:640
	;; [unrolled: 1-line block ×9, first 2 shown]
	v_accvgpr_write_b32 a40, v88
	v_accvgpr_write_b32 a41, v89
	;; [unrolled: 1-line block ×4, first 2 shown]
	ds_read_b128 v[76:79], v210
	ds_read_b128 v[2:5], v210 offset:2496
	ds_read_b128 v[6:9], v210 offset:4992
	;; [unrolled: 1-line block ×9, first 2 shown]
	s_mov_b32 s0, 0x372fe950
	s_mov_b32 s1, 0x3fd3c6ef
	s_waitcnt lgkmcnt(0)
	s_barrier
	v_accvgpr_write_b32 a28, v30
	v_accvgpr_write_b32 a29, v31
	;; [unrolled: 1-line block ×4, first 2 shown]
	s_waitcnt vmcnt(8)
	v_mul_f64 v[0:1], v[4:5], v[58:59]
	v_fma_f64 v[0:1], v[2:3], v[56:57], -v[0:1]
	v_mul_f64 v[2:3], v[2:3], v[58:59]
	v_fmac_f64_e32 v[2:3], v[4:5], v[56:57]
	s_waitcnt vmcnt(7)
	v_mul_f64 v[4:5], v[8:9], v[54:55]
	v_fma_f64 v[4:5], v[6:7], v[52:53], -v[4:5]
	v_mul_f64 v[6:7], v[6:7], v[54:55]
	v_fmac_f64_e32 v[6:7], v[8:9], v[52:53]
	;; [unrolled: 5-line block ×3, first 2 shown]
	s_waitcnt vmcnt(5)
	v_mul_f64 v[12:13], v[90:91], v[18:19]
	v_mul_f64 v[14:15], v[88:89], v[18:19]
	v_accvgpr_write_b32 a53, v19
	v_fma_f64 v[12:13], v[88:89], v[16:17], -v[12:13]
	v_accvgpr_write_b32 a52, v18
	v_accvgpr_write_b32 a51, v17
	;; [unrolled: 1-line block ×3, first 2 shown]
	v_fmac_f64_e32 v[14:15], v[90:91], v[16:17]
	s_waitcnt vmcnt(4)
	v_mul_f64 v[16:17], v[94:95], v[74:75]
	s_waitcnt vmcnt(3)
	v_mul_f64 v[88:89], v[100:101], v[70:71]
	v_mul_f64 v[90:91], v[98:99], v[70:71]
	v_fma_f64 v[16:17], v[92:93], v[72:73], -v[16:17]
	v_mul_f64 v[18:19], v[92:93], v[74:75]
	v_fma_f64 v[88:89], v[98:99], v[68:69], -v[88:89]
	v_fmac_f64_e32 v[90:91], v[100:101], v[68:69]
	s_waitcnt vmcnt(2)
	v_mul_f64 v[92:93], v[104:105], v[66:67]
	s_waitcnt vmcnt(1)
	v_mul_f64 v[100:101], v[106:107], v[62:63]
	v_fmac_f64_e32 v[18:19], v[94:95], v[72:73]
	v_fma_f64 v[92:93], v[102:103], v[64:65], -v[92:93]
	v_mul_f64 v[94:95], v[102:103], v[66:67]
	v_mul_f64 v[98:99], v[108:109], v[62:63]
	v_fmac_f64_e32 v[100:101], v[108:109], v[60:61]
	s_waitcnt vmcnt(0)
	v_mul_f64 v[102:103], v[112:113], v[86:87]
	v_add_f64 v[108:109], v[12:13], v[88:89]
	v_fmac_f64_e32 v[94:95], v[104:105], v[64:65]
	v_fma_f64 v[98:99], v[106:107], v[60:61], -v[98:99]
	v_fma_f64 v[102:103], v[110:111], v[84:85], -v[102:103]
	v_mul_f64 v[104:105], v[110:111], v[86:87]
	v_fma_f64 v[108:109], -0.5, v[108:109], v[76:77]
	v_add_f64 v[110:111], v[6:7], -v[100:101]
	v_fmac_f64_e32 v[104:105], v[112:113], v[84:85]
	v_fma_f64 v[112:113], s[18:19], v[110:111], v[108:109]
	v_add_f64 v[114:115], v[14:15], -v[90:91]
	v_add_f64 v[116:117], v[4:5], -v[12:13]
	;; [unrolled: 1-line block ×3, first 2 shown]
	v_fmac_f64_e32 v[108:109], s[2:3], v[110:111]
	v_fmac_f64_e32 v[112:113], s[20:21], v[114:115]
	v_add_f64 v[116:117], v[116:117], v[118:119]
	v_fmac_f64_e32 v[108:109], s[16:17], v[114:115]
	v_fmac_f64_e32 v[112:113], s[0:1], v[116:117]
	v_fmac_f64_e32 v[108:109], s[0:1], v[116:117]
	v_add_f64 v[116:117], v[4:5], v[98:99]
	v_add_f64 v[106:107], v[76:77], v[4:5]
	v_fmac_f64_e32 v[76:77], -0.5, v[116:117]
	v_add_f64 v[106:107], v[106:107], v[12:13]
	v_fma_f64 v[116:117], s[2:3], v[114:115], v[76:77]
	v_add_f64 v[118:119], v[12:13], -v[4:5]
	v_add_f64 v[120:121], v[88:89], -v[98:99]
	v_fmac_f64_e32 v[76:77], s[18:19], v[114:115]
	v_add_f64 v[114:115], v[14:15], v[90:91]
	v_add_f64 v[106:107], v[106:107], v[88:89]
	v_fmac_f64_e32 v[116:117], s[20:21], v[110:111]
	v_add_f64 v[118:119], v[118:119], v[120:121]
	v_fmac_f64_e32 v[76:77], s[16:17], v[110:111]
	v_fma_f64 v[114:115], -0.5, v[114:115], v[78:79]
	v_add_f64 v[4:5], v[4:5], -v[98:99]
	v_add_f64 v[106:107], v[106:107], v[98:99]
	v_fmac_f64_e32 v[116:117], s[0:1], v[118:119]
	v_fmac_f64_e32 v[76:77], s[0:1], v[118:119]
	v_fma_f64 v[118:119], s[2:3], v[4:5], v[114:115]
	v_add_f64 v[12:13], v[12:13], -v[88:89]
	v_add_f64 v[88:89], v[6:7], -v[14:15]
	;; [unrolled: 1-line block ×3, first 2 shown]
	v_fmac_f64_e32 v[114:115], s[18:19], v[4:5]
	v_fmac_f64_e32 v[118:119], s[16:17], v[12:13]
	v_add_f64 v[88:89], v[88:89], v[98:99]
	v_fmac_f64_e32 v[114:115], s[20:21], v[12:13]
	v_fmac_f64_e32 v[118:119], s[0:1], v[88:89]
	;; [unrolled: 1-line block ×3, first 2 shown]
	v_add_f64 v[88:89], v[6:7], v[100:101]
	v_add_f64 v[110:111], v[78:79], v[6:7]
	v_fmac_f64_e32 v[78:79], -0.5, v[88:89]
	v_fma_f64 v[120:121], s[18:19], v[12:13], v[78:79]
	v_fmac_f64_e32 v[78:79], s[2:3], v[12:13]
	v_fmac_f64_e32 v[120:121], s[16:17], v[4:5]
	v_fmac_f64_e32 v[78:79], s[20:21], v[4:5]
	v_add_f64 v[4:5], v[0:1], v[8:9]
	v_add_f64 v[4:5], v[4:5], v[16:17]
	;; [unrolled: 1-line block ×5, first 2 shown]
	v_add_f64 v[6:7], v[14:15], -v[6:7]
	v_add_f64 v[14:15], v[90:91], -v[100:101]
	v_add_f64 v[98:99], v[4:5], v[102:103]
	v_add_f64 v[4:5], v[16:17], v[92:93]
	;; [unrolled: 1-line block ×4, first 2 shown]
	v_fma_f64 v[100:101], -0.5, v[4:5], v[0:1]
	v_add_f64 v[4:5], v[10:11], -v[104:105]
	v_fmac_f64_e32 v[120:121], s[0:1], v[6:7]
	v_fmac_f64_e32 v[78:79], s[0:1], v[6:7]
	v_fma_f64 v[14:15], s[18:19], v[4:5], v[100:101]
	v_add_f64 v[6:7], v[18:19], -v[94:95]
	v_add_f64 v[12:13], v[8:9], -v[16:17]
	;; [unrolled: 1-line block ×3, first 2 shown]
	v_fmac_f64_e32 v[100:101], s[2:3], v[4:5]
	v_fmac_f64_e32 v[14:15], s[20:21], v[6:7]
	v_add_f64 v[12:13], v[12:13], v[88:89]
	v_fmac_f64_e32 v[100:101], s[16:17], v[6:7]
	v_fmac_f64_e32 v[14:15], s[0:1], v[12:13]
	;; [unrolled: 1-line block ×3, first 2 shown]
	v_add_f64 v[12:13], v[8:9], v[102:103]
	v_fmac_f64_e32 v[0:1], -0.5, v[12:13]
	v_fma_f64 v[90:91], s[2:3], v[6:7], v[0:1]
	v_fmac_f64_e32 v[0:1], s[18:19], v[6:7]
	v_fmac_f64_e32 v[90:91], s[20:21], v[4:5]
	;; [unrolled: 1-line block ×3, first 2 shown]
	v_add_f64 v[4:5], v[2:3], v[10:11]
	v_add_f64 v[4:5], v[4:5], v[18:19]
	;; [unrolled: 1-line block ×3, first 2 shown]
	v_add_f64 v[12:13], v[16:17], -v[8:9]
	v_add_f64 v[88:89], v[92:93], -v[102:103]
	v_add_f64 v[122:123], v[4:5], v[104:105]
	v_add_f64 v[4:5], v[18:19], v[94:95]
	;; [unrolled: 1-line block ×3, first 2 shown]
	v_fma_f64 v[128:129], -0.5, v[4:5], v[2:3]
	v_add_f64 v[4:5], v[8:9], -v[102:103]
	v_fmac_f64_e32 v[90:91], s[0:1], v[12:13]
	v_fmac_f64_e32 v[0:1], s[0:1], v[12:13]
	v_fma_f64 v[102:103], s[2:3], v[4:5], v[128:129]
	v_add_f64 v[6:7], v[16:17], -v[92:93]
	v_add_f64 v[8:9], v[10:11], -v[18:19]
	v_add_f64 v[12:13], v[104:105], -v[94:95]
	v_fmac_f64_e32 v[128:129], s[18:19], v[4:5]
	v_fmac_f64_e32 v[102:103], s[16:17], v[6:7]
	v_add_f64 v[8:9], v[8:9], v[12:13]
	v_fmac_f64_e32 v[128:129], s[20:21], v[6:7]
	v_fmac_f64_e32 v[102:103], s[0:1], v[8:9]
	;; [unrolled: 1-line block ×3, first 2 shown]
	v_add_f64 v[8:9], v[10:11], v[104:105]
	v_fmac_f64_e32 v[2:3], -0.5, v[8:9]
	v_fma_f64 v[16:17], s[18:19], v[6:7], v[2:3]
	v_add_f64 v[8:9], v[18:19], -v[10:11]
	v_add_f64 v[10:11], v[94:95], -v[104:105]
	v_fmac_f64_e32 v[2:3], s[2:3], v[6:7]
	v_add_f64 v[8:9], v[8:9], v[10:11]
	v_fmac_f64_e32 v[2:3], s[20:21], v[4:5]
	v_fmac_f64_e32 v[16:17], s[16:17], v[4:5]
	;; [unrolled: 1-line block ×3, first 2 shown]
	v_mul_f64 v[6:7], v[0:1], s[0:1]
	v_fmac_f64_e32 v[16:17], s[0:1], v[8:9]
	v_fma_f64 v[130:131], v[2:3], s[18:19], -v[6:7]
	v_mul_f64 v[140:141], v[90:91], s[2:3]
	v_mul_f64 v[2:3], v[2:3], s[0:1]
	;; [unrolled: 1-line block ×3, first 2 shown]
	v_fmac_f64_e32 v[140:141], s[0:1], v[16:17]
	v_fma_f64 v[16:17], v[0:1], s[2:3], -v[2:3]
	v_mul_f64 v[18:19], v[102:103], s[20:21]
	v_fmac_f64_e32 v[104:105], s[0:1], v[90:91]
	v_mul_f64 v[6:7], v[100:101], s[22:23]
	v_mul_f64 v[138:139], v[14:15], s[16:17]
	v_add_f64 v[90:91], v[78:79], v[16:17]
	v_mul_f64 v[0:1], v[128:129], s[22:23]
	v_add_f64 v[78:79], v[78:79], -v[16:17]
	v_mul_u32_u24_e32 v16, 0x208, v20
	v_add_f64 v[4:5], v[106:107], v[98:99]
	v_fmac_f64_e32 v[18:19], s[22:23], v[14:15]
	v_fma_f64 v[136:137], v[128:129], s[20:21], -v[6:7]
	v_add_f64 v[6:7], v[110:111], v[122:123]
	v_fmac_f64_e32 v[138:139], s[22:23], v[102:103]
	v_fma_f64 v[128:129], v[100:101], s[16:17], -v[0:1]
	v_add_lshl_u32 v211, v16, v21, 4
	v_add_f64 v[8:9], v[112:113], v[18:19]
	v_add_f64 v[12:13], v[116:117], v[104:105]
	;; [unrolled: 1-line block ×7, first 2 shown]
	v_add_f64 v[0:1], v[106:107], -v[98:99]
	v_add_f64 v[98:99], v[112:113], -v[18:19]
	;; [unrolled: 1-line block ×9, first 2 shown]
	ds_write_b128 v211, v[4:7]
	ds_write_b128 v211, v[8:11] offset:832
	ds_write_b128 v211, v[12:15] offset:1664
	;; [unrolled: 1-line block ×9, first 2 shown]
	s_waitcnt lgkmcnt(0)
	s_barrier
	ds_read_b128 v[112:115], v210
	ds_read_b128 v[120:123], v210 offset:2496
	ds_read_b128 v[144:147], v210 offset:16640
	;; [unrolled: 1-line block ×8, first 2 shown]
	v_cmp_gt_u16_e64 s[2:3], 52, v176
	s_and_saveexec_b64 s[0:1], s[2:3]
	s_cbranch_execz .LBB0_9
; %bb.8:
	ds_read_b128 v[116:119], v210 offset:7488
	ds_read_b128 v[132:135], v210 offset:15808
	;; [unrolled: 1-line block ×3, first 2 shown]
.LBB0_9:
	s_or_b64 exec, exec, s[0:1]
	v_lshlrev_b32_e32 v0, 5, v176
	v_mov_b32_e32 v1, 0
	v_lshl_add_u64 v[0:1], s[6:7], 0, v[0:1]
	s_mov_b64 s[0:1], 0x1fb0
	s_movk_i32 s18, 0x1000
	v_lshl_add_u64 v[2:3], v[0:1], 0, s[0:1]
	v_add_co_u32_e32 v0, vcc, s18, v0
	s_movk_i32 s16, 0xffcc
	s_nop 0
	v_addc_co_u32_e32 v1, vcc, 0, v1, vcc
	global_load_dwordx4 v[88:91], v[0:1], off offset:4016
	global_load_dwordx4 v[92:95], v[2:3], off offset:16
	v_lshlrev_b64 v[0:1], 5, v[96:97]
	v_lshl_add_u64 v[0:1], s[6:7], 0, v[0:1]
	v_lshl_add_u64 v[2:3], v[0:1], 0, s[0:1]
	v_add_co_u32_e32 v0, vcc, s18, v0
	s_mov_b32 s17, -1
	s_nop 0
	v_addc_co_u32_e32 v1, vcc, 0, v1, vcc
	global_load_dwordx4 v[96:99], v[0:1], off offset:4016
	global_load_dwordx4 v[100:103], v[2:3], off offset:16
	v_lshlrev_b64 v[0:1], 5, v[82:83]
	v_lshl_add_u64 v[0:1], s[6:7], 0, v[0:1]
	v_add_co_u32_e32 v2, vcc, s18, v0
	s_waitcnt vmcnt(2) lgkmcnt(6)
	v_mul_f64 v[4:5], v[146:147], v[94:95]
	v_addc_co_u32_e32 v3, vcc, 0, v1, vcc
	v_lshl_add_u64 v[0:1], v[0:1], 0, s[0:1]
	global_load_dwordx4 v[104:107], v[2:3], off offset:4016
	global_load_dwordx4 v[108:111], v[0:1], off offset:16
	v_lshl_add_u64 v[0:1], v[176:177], 0, s[16:17]
	v_cndmask_b32_e64 v1, v1, v81, s[2:3]
	v_cndmask_b32_e64 v0, v0, v80, s[2:3]
	v_lshlrev_b64 v[0:1], 5, v[0:1]
	v_lshl_add_u64 v[0:1], s[6:7], 0, v[0:1]
	v_add_co_u32_e32 v2, vcc, s18, v0
	v_mul_f64 v[6:7], v[144:145], v[94:95]
	s_nop 0
	v_addc_co_u32_e32 v3, vcc, 0, v1, vcc
	v_lshl_add_u64 v[0:1], v[0:1], 0, s[0:1]
	global_load_dwordx4 v[20:23], v[2:3], off offset:4016
	global_load_dwordx4 v[24:27], v[0:1], off offset:16
	s_waitcnt lgkmcnt(4)
	v_mul_f64 v[0:1], v[158:159], v[90:91]
	v_mul_f64 v[2:3], v[156:157], v[90:91]
	s_waitcnt vmcnt(5) lgkmcnt(2)
	v_mul_f64 v[10:11], v[152:153], v[98:99]
	v_mul_f64 v[8:9], v[154:155], v[98:99]
	s_waitcnt vmcnt(4)
	v_mul_f64 v[14:15], v[136:137], v[102:103]
	v_fma_f64 v[0:1], v[156:157], v[88:89], -v[0:1]
	v_fmac_f64_e32 v[2:3], v[158:159], v[88:89]
	v_fma_f64 v[4:5], v[144:145], v[92:93], -v[4:5]
	v_fmac_f64_e32 v[6:7], v[146:147], v[92:93]
	v_fmac_f64_e32 v[10:11], v[154:155], v[96:97]
	s_mov_b32 s0, 0xe8584caa
	v_mul_f64 v[12:13], v[138:139], v[102:103]
	v_fmac_f64_e32 v[14:15], v[138:139], v[100:101]
	v_add_f64 v[82:83], v[0:1], v[4:5]
	v_add_f64 v[138:139], v[2:3], -v[6:7]
	s_mov_b32 s1, 0x3febb67a
	s_mov_b32 s7, 0xbfebb67a
	;; [unrolled: 1-line block ×3, first 2 shown]
	v_fma_f64 v[8:9], v[152:153], v[96:97], -v[8:9]
	v_add_f64 v[80:81], v[112:113], v[0:1]
	v_fmac_f64_e32 v[112:113], -0.5, v[82:83]
	v_add_f64 v[0:1], v[0:1], -v[4:5]
	v_fma_f64 v[12:13], v[136:137], v[100:101], -v[12:13]
	v_add_f64 v[136:137], v[80:81], v[4:5]
	s_waitcnt vmcnt(3) lgkmcnt(1)
	v_mul_f64 v[16:17], v[150:151], v[106:107]
	s_waitcnt vmcnt(2) lgkmcnt(0)
	v_mul_f64 v[78:79], v[140:141], v[110:111]
	v_mul_f64 v[76:77], v[142:143], v[110:111]
	v_fmac_f64_e32 v[78:79], v[142:143], v[108:109]
	v_fma_f64 v[76:77], v[140:141], v[108:109], -v[76:77]
	v_fma_f64 v[16:17], v[148:149], v[104:105], -v[16:17]
	v_mul_f64 v[18:19], v[148:149], v[106:107]
	v_fmac_f64_e32 v[18:19], v[150:151], v[104:105]
	s_waitcnt vmcnt(1)
	v_mul_f64 v[140:141], v[134:135], v[22:23]
	s_waitcnt vmcnt(0)
	v_mul_f64 v[154:155], v[124:125], v[26:27]
	v_mul_f64 v[142:143], v[126:127], v[26:27]
	v_fmac_f64_e32 v[154:155], v[126:127], v[24:25]
	v_add_f64 v[126:127], v[114:115], v[2:3]
	v_add_f64 v[2:3], v[2:3], v[6:7]
	v_fmac_f64_e32 v[114:115], -0.5, v[2:3]
	v_fma_f64 v[82:83], v[124:125], v[24:25], -v[142:143]
	v_fma_f64 v[124:125], s[0:1], v[138:139], v[112:113]
	v_fmac_f64_e32 v[112:113], s[6:7], v[138:139]
	v_add_f64 v[138:139], v[126:127], v[6:7]
	v_fma_f64 v[126:127], s[6:7], v[0:1], v[114:115]
	v_fmac_f64_e32 v[114:115], s[0:1], v[0:1]
	v_add_f64 v[0:1], v[120:121], v[8:9]
	v_mul_f64 v[152:153], v[132:133], v[22:23]
	v_fma_f64 v[80:81], v[132:133], v[20:21], -v[140:141]
	v_add_f64 v[132:133], v[0:1], v[12:13]
	v_add_f64 v[0:1], v[8:9], v[12:13]
	v_fmac_f64_e32 v[120:121], -0.5, v[0:1]
	v_add_f64 v[0:1], v[10:11], -v[14:15]
	v_fma_f64 v[140:141], s[0:1], v[0:1], v[120:121]
	v_fmac_f64_e32 v[120:121], s[6:7], v[0:1]
	v_add_f64 v[0:1], v[122:123], v[10:11]
	v_fmac_f64_e32 v[152:153], v[134:135], v[20:21]
	v_add_f64 v[134:135], v[0:1], v[14:15]
	v_add_f64 v[0:1], v[10:11], v[14:15]
	v_fmac_f64_e32 v[122:123], -0.5, v[0:1]
	v_add_f64 v[0:1], v[8:9], -v[12:13]
	v_fma_f64 v[142:143], s[6:7], v[0:1], v[122:123]
	v_fmac_f64_e32 v[122:123], s[0:1], v[0:1]
	v_add_f64 v[0:1], v[128:129], v[16:17]
	v_add_f64 v[144:145], v[0:1], v[76:77]
	v_add_f64 v[0:1], v[16:17], v[76:77]
	v_fmac_f64_e32 v[128:129], -0.5, v[0:1]
	v_add_f64 v[0:1], v[18:19], -v[78:79]
	v_fma_f64 v[148:149], s[0:1], v[0:1], v[128:129]
	v_fmac_f64_e32 v[128:129], s[6:7], v[0:1]
	v_add_f64 v[0:1], v[130:131], v[18:19]
	;; [unrolled: 7-line block ×4, first 2 shown]
	v_add_f64 v[162:163], v[0:1], v[154:155]
	v_add_f64 v[0:1], v[152:153], v[154:155]
	v_accvgpr_write_b32 a57, v23
	v_accvgpr_write_b32 a61, v27
	v_fmac_f64_e32 v[118:119], -0.5, v[0:1]
	v_add_f64 v[0:1], v[80:81], -v[82:83]
	v_accvgpr_write_b32 a56, v22
	v_accvgpr_write_b32 a55, v21
	;; [unrolled: 1-line block ×6, first 2 shown]
	v_fma_f64 v[166:167], s[6:7], v[0:1], v[118:119]
	v_fmac_f64_e32 v[118:119], s[0:1], v[0:1]
	ds_write_b128 v210, v[136:139]
	ds_write_b128 v210, v[124:127] offset:8320
	ds_write_b128 v210, v[112:115] offset:16640
	;; [unrolled: 1-line block ×8, first 2 shown]
	s_and_saveexec_b64 s[0:1], s[2:3]
	s_cbranch_execz .LBB0_11
; %bb.10:
	ds_write_b128 v210, v[160:163] offset:7488
	ds_write_b128 v210, v[164:167] offset:15808
	;; [unrolled: 1-line block ×3, first 2 shown]
.LBB0_11:
	s_or_b64 exec, exec, s[0:1]
	s_waitcnt lgkmcnt(0)
	s_barrier
	s_and_saveexec_b64 s[0:1], s[4:5]
	s_cbranch_execz .LBB0_13
; %bb.12:
	v_mov_b32_e32 v0, v189
	v_mov_b32_e32 v189, 0
	v_lshl_add_u64 v[152:153], s[14:15], 0, v[188:189]
	v_add_co_u32_e32 v4, vcc, 0x6000, v152
	v_mov_b32_e32 v189, v0
	s_nop 0
	v_addc_co_u32_e32 v5, vcc, 0, v153, vcc
	global_load_dwordx4 v[4:7], v[4:5], off offset:384
	ds_read_b128 v[0:3], v210
	s_mov_b64 s[6:7], 0x6180
	v_lshl_add_u64 v[12:13], v[152:153], 0, s[6:7]
	s_movk_i32 s6, 0x7000
	s_waitcnt vmcnt(0) lgkmcnt(0)
	v_mul_f64 v[8:9], v[2:3], v[6:7]
	v_mul_f64 v[10:11], v[0:1], v[6:7]
	v_fma_f64 v[8:9], v[0:1], v[4:5], -v[8:9]
	v_fmac_f64_e32 v[10:11], v[2:3], v[4:5]
	global_load_dwordx4 v[4:7], v[12:13], off offset:1920
	ds_write_b128 v210, v[8:11]
	ds_read_b128 v[0:3], v188 offset:1920
	s_waitcnt vmcnt(0) lgkmcnt(0)
	v_mul_f64 v[8:9], v[2:3], v[6:7]
	v_mul_f64 v[10:11], v[0:1], v[6:7]
	v_fma_f64 v[8:9], v[0:1], v[4:5], -v[8:9]
	v_fmac_f64_e32 v[10:11], v[2:3], v[4:5]
	global_load_dwordx4 v[4:7], v[12:13], off offset:3840
	ds_read_b128 v[0:3], v188 offset:3840
	v_add_co_u32_e32 v12, vcc, s6, v152
	ds_write_b128 v188, v[8:11] offset:1920
	s_nop 0
	v_addc_co_u32_e32 v13, vcc, 0, v153, vcc
	s_mov_b32 s6, 0x8000
	s_waitcnt vmcnt(0) lgkmcnt(1)
	v_mul_f64 v[8:9], v[2:3], v[6:7]
	v_mul_f64 v[10:11], v[0:1], v[6:7]
	v_fma_f64 v[8:9], v[0:1], v[4:5], -v[8:9]
	v_fmac_f64_e32 v[10:11], v[2:3], v[4:5]
	global_load_dwordx4 v[4:7], v[12:13], off offset:2048
	ds_read_b128 v[0:3], v188 offset:5760
	ds_write_b128 v188, v[8:11] offset:3840
	s_waitcnt vmcnt(0) lgkmcnt(1)
	v_mul_f64 v[8:9], v[2:3], v[6:7]
	v_mul_f64 v[10:11], v[0:1], v[6:7]
	v_fma_f64 v[8:9], v[0:1], v[4:5], -v[8:9]
	v_fmac_f64_e32 v[10:11], v[2:3], v[4:5]
	global_load_dwordx4 v[4:7], v[12:13], off offset:3968
	ds_read_b128 v[0:3], v188 offset:7680
	v_add_co_u32_e32 v12, vcc, s6, v152
	ds_write_b128 v188, v[8:11] offset:5760
	s_nop 0
	v_addc_co_u32_e32 v13, vcc, 0, v153, vcc
	s_mov_b32 s6, 0x9000
	s_waitcnt vmcnt(0) lgkmcnt(1)
	v_mul_f64 v[8:9], v[2:3], v[6:7]
	v_mul_f64 v[10:11], v[0:1], v[6:7]
	v_fma_f64 v[8:9], v[0:1], v[4:5], -v[8:9]
	v_fmac_f64_e32 v[10:11], v[2:3], v[4:5]
	global_load_dwordx4 v[4:7], v[12:13], off offset:1792
	ds_read_b128 v[0:3], v188 offset:9600
	ds_write_b128 v188, v[8:11] offset:7680
	;; [unrolled: 20-line block ×4, first 2 shown]
	s_waitcnt vmcnt(0) lgkmcnt(1)
	v_mul_f64 v[8:9], v[2:3], v[6:7]
	v_mul_f64 v[10:11], v[0:1], v[6:7]
	v_fma_f64 v[8:9], v[0:1], v[4:5], -v[8:9]
	v_fmac_f64_e32 v[10:11], v[2:3], v[4:5]
	global_load_dwordx4 v[4:7], v[12:13], off offset:3200
	ds_read_b128 v[0:3], v188 offset:19200
	v_add_co_u32_e32 v12, vcc, s6, v152
	ds_write_b128 v188, v[8:11] offset:17280
	s_nop 0
	v_addc_co_u32_e32 v13, vcc, 0, v153, vcc
	ds_read_b128 v[152:155], v188 offset:23040
	s_waitcnt vmcnt(0) lgkmcnt(2)
	v_mul_f64 v[8:9], v[2:3], v[6:7]
	v_mul_f64 v[10:11], v[0:1], v[6:7]
	v_fma_f64 v[8:9], v[0:1], v[4:5], -v[8:9]
	v_fmac_f64_e32 v[10:11], v[2:3], v[4:5]
	global_load_dwordx4 v[4:7], v[12:13], off offset:1024
	ds_read_b128 v[0:3], v188 offset:21120
	ds_write_b128 v188, v[8:11] offset:19200
	s_waitcnt vmcnt(0) lgkmcnt(1)
	v_mul_f64 v[8:9], v[2:3], v[6:7]
	v_mul_f64 v[10:11], v[0:1], v[6:7]
	v_fma_f64 v[8:9], v[0:1], v[4:5], -v[8:9]
	v_fmac_f64_e32 v[10:11], v[2:3], v[4:5]
	global_load_dwordx4 v[0:3], v[12:13], off offset:2944
	ds_write_b128 v188, v[8:11] offset:21120
	s_waitcnt vmcnt(0)
	v_mul_f64 v[4:5], v[154:155], v[2:3]
	v_mul_f64 v[6:7], v[152:153], v[2:3]
	v_fma_f64 v[4:5], v[152:153], v[0:1], -v[4:5]
	v_fmac_f64_e32 v[6:7], v[154:155], v[0:1]
	ds_write_b128 v188, v[4:7] offset:23040
.LBB0_13:
	s_or_b64 exec, exec, s[0:1]
	s_waitcnt lgkmcnt(0)
	s_barrier
	s_and_saveexec_b64 s[0:1], s[4:5]
	s_cbranch_execz .LBB0_15
; %bb.14:
	ds_read_b128 v[136:139], v210
	ds_read_b128 v[124:127], v210 offset:1920
	ds_read_b128 v[112:115], v210 offset:3840
	;; [unrolled: 1-line block ×12, first 2 shown]
.LBB0_15:
	s_or_b64 exec, exec, s[0:1]
	s_mov_b32 s16, 0x42a4c3d2
	s_waitcnt lgkmcnt(0)
	v_add_f64 v[198:199], v[126:127], -v[252:253]
	s_mov_b32 s0, 0x1ea71119
	s_mov_b32 s17, 0xbfea55e2
	s_mov_b32 s26, 0x2ef20147
	v_add_f64 v[194:195], v[124:125], v[250:251]
	v_add_f64 v[196:197], v[126:127], v[252:253]
	s_mov_b32 s1, 0x3fe22d96
	v_mul_f64 v[14:15], v[198:199], s[16:17]
	s_mov_b32 s22, 0x66966769
	v_add_f64 v[206:207], v[114:115], -v[118:119]
	s_mov_b32 s18, 0xb2365da1
	s_mov_b32 s27, 0xbfedeba7
	v_add_f64 v[202:203], v[124:125], -v[250:251]
	v_mul_f64 v[218:219], v[196:197], s[0:1]
	v_fma_f64 v[0:1], v[194:195], s[0:1], -v[14:15]
	s_mov_b32 s6, 0xebaa3ed8
	s_mov_b32 s23, 0xbfefc445
	v_add_f64 v[200:201], v[112:113], v[116:117]
	v_add_f64 v[204:205], v[114:115], v[118:119]
	s_mov_b32 s19, 0xbfd6b1d8
	v_mul_f64 v[224:225], v[206:207], s[26:27]
	s_mov_b32 s28, 0x4bc48dbf
	v_add_f64 v[0:1], v[136:137], v[0:1]
	v_fma_f64 v[2:3], s[16:17], v[202:203], v[218:219]
	s_mov_b32 s7, 0x3fbedb7d
	v_mul_f64 v[228:229], v[198:199], s[22:23]
	v_add_f64 v[216:217], v[112:113], -v[116:117]
	v_mul_f64 v[234:235], v[204:205], s[18:19]
	v_fma_f64 v[8:9], v[200:201], s[18:19], -v[224:225]
	s_mov_b32 s24, 0x93053d00
	s_mov_b32 s29, 0xbfcea1e5
	v_mov_b64_e32 v[44:45], v[250:251]
	v_add_f64 v[2:3], v[138:139], v[2:3]
	v_mul_f64 v[236:237], v[196:197], s[6:7]
	v_fma_f64 v[4:5], v[194:195], s[6:7], -v[228:229]
	v_add_f64 v[0:1], v[8:9], v[0:1]
	v_fma_f64 v[8:9], s[26:27], v[216:217], v[234:235]
	s_mov_b32 s25, 0xbfef11f4
	v_mov_b64_e32 v[46:47], v[252:253]
	v_mul_f64 v[250:251], v[206:207], s[28:29]
	v_add_f64 v[4:5], v[136:137], v[4:5]
	v_fma_f64 v[6:7], s[22:23], v[202:203], v[236:237]
	v_add_f64 v[2:3], v[8:9], v[2:3]
	v_mul_f64 v[192:193], v[204:205], s[24:25]
	v_fma_f64 v[8:9], v[200:201], s[24:25], -v[250:251]
	v_add_f64 v[220:221], v[134:135], -v[166:167]
	v_add_f64 v[6:7], v[138:139], v[6:7]
	v_add_f64 v[4:5], v[8:9], v[4:5]
	v_fma_f64 v[8:9], s[28:29], v[216:217], v[192:193]
	v_add_f64 v[208:209], v[132:133], v[164:165]
	v_add_f64 v[212:213], v[134:135], v[166:167]
	v_mul_f64 v[240:241], v[220:221], s[28:29]
	v_add_f64 v[6:7], v[8:9], v[6:7]
	v_add_f64 v[232:233], v[132:133], -v[164:165]
	v_mul_f64 v[246:247], v[212:213], s[24:25]
	v_fma_f64 v[8:9], v[208:209], s[24:25], -v[240:241]
	s_mov_b32 s44, s26
	v_add_f64 v[0:1], v[8:9], v[0:1]
	v_fma_f64 v[8:9], s[28:29], v[232:233], v[246:247]
	v_mul_f64 v[190:191], v[220:221], s[44:45]
	s_mov_b32 s40, 0x24c2f84
	v_add_f64 v[2:3], v[8:9], v[2:3]
	v_mul_f64 v[82:83], v[212:213], s[18:19]
	v_fma_f64 v[8:9], v[208:209], s[18:19], -v[190:191]
	v_add_f64 v[230:231], v[142:143], -v[162:163]
	s_mov_b32 s30, 0xd0032e0c
	s_mov_b32 s41, 0x3fe5384d
	v_add_f64 v[4:5], v[8:9], v[4:5]
	v_fma_f64 v[8:9], s[44:45], v[232:233], v[82:83]
	v_add_f64 v[214:215], v[140:141], v[160:161]
	v_add_f64 v[222:223], v[142:143], v[162:163]
	s_mov_b32 s31, 0xbfe7f3cc
	v_mul_f64 v[254:255], v[230:231], s[40:41]
	v_add_f64 v[6:7], v[8:9], v[6:7]
	v_add_f64 v[244:245], v[140:141], -v[160:161]
	v_mul_f64 v[80:81], v[222:223], s[30:31]
	v_fma_f64 v[8:9], v[214:215], s[30:31], -v[254:255]
	s_mov_b32 s34, 0xe00740e9
	s_mov_b32 s37, 0x3fddbe06
	;; [unrolled: 1-line block ×3, first 2 shown]
	v_add_f64 v[8:9], v[8:9], v[0:1]
	v_fma_f64 v[0:1], s[40:41], v[244:245], v[80:81]
	s_mov_b32 s35, 0x3fec55a7
	v_mul_f64 v[168:169], v[230:231], s[36:37]
	v_add_f64 v[2:3], v[0:1], v[2:3]
	v_mul_f64 v[174:175], v[222:223], s[34:35]
	v_fma_f64 v[0:1], v[214:215], s[34:35], -v[168:169]
	v_add_f64 v[4:5], v[0:1], v[4:5]
	v_fma_f64 v[0:1], s[36:37], v[244:245], v[174:175]
	v_add_f64 v[252:253], v[122:123], -v[130:131]
	s_mov_b32 s42, s22
	v_add_f64 v[10:11], v[0:1], v[6:7]
	v_add_f64 v[226:227], v[120:121], v[128:129]
	;; [unrolled: 1-line block ×3, first 2 shown]
	v_mul_f64 v[0:1], v[252:253], s[42:43]
	v_add_f64 v[78:79], v[120:121], -v[128:129]
	v_mul_f64 v[170:171], v[238:239], s[6:7]
	v_fma_f64 v[6:7], v[226:227], s[6:7], -v[0:1]
	v_add_f64 v[12:13], v[6:7], v[8:9]
	v_fma_f64 v[6:7], s[42:43], v[78:79], v[170:171]
	v_add_f64 v[16:17], v[6:7], v[2:3]
	v_mul_f64 v[6:7], v[252:253], s[16:17]
	v_mul_f64 v[8:9], v[238:239], s[0:1]
	v_fma_f64 v[2:3], v[226:227], s[0:1], -v[6:7]
	v_add_f64 v[76:77], v[146:147], -v[150:151]
	v_add_f64 v[18:19], v[2:3], v[4:5]
	v_fma_f64 v[2:3], s[16:17], v[78:79], v[8:9]
	v_add_f64 v[242:243], v[144:145], v[148:149]
	v_add_f64 v[248:249], v[146:147], v[150:151]
	v_mul_f64 v[172:173], v[76:77], s[36:37]
	v_add_f64 v[158:159], v[2:3], v[10:11]
	v_add_f64 v[2:3], v[144:145], -v[148:149]
	v_mul_f64 v[4:5], v[248:249], s[34:35]
	v_fma_f64 v[10:11], v[242:243], s[34:35], -v[172:173]
	v_add_f64 v[152:153], v[10:11], v[12:13]
	v_fma_f64 v[10:11], s[36:37], v[2:3], v[4:5]
	s_mov_b32 s39, 0xbfe5384d
	s_mov_b32 s38, s40
	v_add_f64 v[154:155], v[10:11], v[16:17]
	v_mul_f64 v[10:11], v[76:77], s[38:39]
	v_mul_f64 v[12:13], v[248:249], s[30:31]
	v_fma_f64 v[16:17], v[242:243], s[30:31], -v[10:11]
	v_add_f64 v[156:157], v[16:17], v[18:19]
	v_fma_f64 v[16:17], s[38:39], v[2:3], v[12:13]
	v_add_f64 v[158:159], v[16:17], v[158:159]
	s_barrier
	s_and_saveexec_b64 s[20:21], s[4:5]
	s_cbranch_execz .LBB0_17
; %bb.16:
	v_mul_f64 v[16:17], v[194:195], s[0:1]
	v_accvgpr_write_b32 a71, v17
	v_accvgpr_write_b32 a70, v16
	v_mul_f64 v[16:17], v[202:203], s[16:17]
	v_accvgpr_write_b32 a77, v17
	v_accvgpr_write_b32 a76, v16
	;; [unrolled: 3-line block ×17, first 2 shown]
	v_accvgpr_write_b32 a82, v16
	v_mul_f64 v[16:17], v[78:79], s[42:43]
	v_accvgpr_write_b32 a94, v14
	v_mul_f64 v[14:15], v[202:203], s[28:29]
	v_accvgpr_write_b32 a93, v17
	v_accvgpr_write_b32 a4, v182
	v_mul_f64 v[20:21], v[216:217], s[36:37]
	v_fma_f64 v[24:25], s[24:25], v[196:197], v[14:15]
	v_accvgpr_write_b32 a92, v16
	v_mul_f64 v[16:17], v[226:227], s[0:1]
	s_mov_b32 s45, 0x3fea55e2
	s_mov_b32 s44, s16
	v_accvgpr_write_b32 a5, v183
	v_accvgpr_write_b32 a6, v184
	;; [unrolled: 1-line block ×3, first 2 shown]
	v_mul_f64 v[184:185], v[232:233], s[38:39]
	v_fma_f64 v[22:23], s[34:35], v[204:205], v[20:21]
	v_add_f64 v[24:25], v[138:139], v[24:25]
	v_accvgpr_write_b32 a105, v17
	v_accvgpr_write_b32 a2, v180
	;; [unrolled: 1-line block ×3, first 2 shown]
	v_mul_f64 v[180:181], v[244:245], s[44:45]
	v_accvgpr_write_b32 a25, v186
	v_accvgpr_write_b32 a27, v187
	v_fma_f64 v[186:187], s[30:31], v[212:213], v[184:185]
	v_add_f64 v[22:23], v[22:23], v[24:25]
	v_mul_f64 v[34:35], v[198:199], s[28:29]
	v_accvgpr_write_b32 a104, v16
	v_mul_f64 v[16:17], v[78:79], s[16:17]
	v_accvgpr_write_b32 a0, v176
	v_mul_f64 v[176:177], v[78:79], s[26:27]
	v_fma_f64 v[182:183], s[0:1], v[222:223], v[180:181]
	v_add_f64 v[22:23], v[186:187], v[22:23]
	v_mul_f64 v[30:31], v[206:207], s[36:37]
	v_accvgpr_write_b32 a26, v36
	v_fma_f64 v[36:37], v[194:195], s[24:25], -v[34:35]
	v_accvgpr_write_b32 a111, v17
	v_accvgpr_write_b32 a1, v178
	;; [unrolled: 1-line block ×3, first 2 shown]
	v_fma_f64 v[178:179], s[18:19], v[238:239], v[176:177]
	v_add_f64 v[22:23], v[182:183], v[22:23]
	v_mul_f64 v[186:187], v[220:221], s[38:39]
	v_fma_f64 v[32:33], v[200:201], s[34:35], -v[30:31]
	v_add_f64 v[36:37], v[136:137], v[36:37]
	v_accvgpr_write_b32 a110, v16
	v_mul_f64 v[16:17], v[2:3], s[42:43]
	v_add_f64 v[22:23], v[178:179], v[22:23]
	v_mul_f64 v[178:179], v[230:231], s[44:45]
	v_fma_f64 v[28:29], v[208:209], s[30:31], -v[186:187]
	v_add_f64 v[32:33], v[32:33], v[36:37]
	v_fma_f64 v[18:19], s[6:7], v[248:249], v[16:17]
	v_accvgpr_write_b32 a65, v51
	v_mul_f64 v[24:25], v[252:253], s[26:27]
	v_fma_f64 v[182:183], v[214:215], s[0:1], -v[178:179]
	v_add_f64 v[28:29], v[28:29], v[32:33]
	v_fma_f64 v[14:15], v[196:197], s[24:25], -v[14:15]
	v_accvgpr_write_b32 a64, v50
	v_accvgpr_write_b32 a63, v49
	;; [unrolled: 1-line block ×3, first 2 shown]
	v_add_f64 v[50:51], v[18:19], v[22:23]
	v_mul_f64 v[18:19], v[76:77], s[42:43]
	v_fma_f64 v[26:27], v[226:227], s[18:19], -v[24:25]
	v_add_f64 v[28:29], v[182:183], v[28:29]
	v_fma_f64 v[20:21], v[204:205], s[34:35], -v[20:21]
	v_add_f64 v[14:15], v[138:139], v[14:15]
	;; [unrolled: 2-line block ×4, first 2 shown]
	v_add_f64 v[48:49], v[22:23], v[26:27]
	v_fma_f64 v[26:27], v[222:223], s[0:1], -v[180:181]
	v_add_f64 v[14:15], v[28:29], v[14:15]
	v_fma_f64 v[22:23], v[238:239], s[18:19], -v[176:177]
	;; [unrolled: 2-line block ×3, first 2 shown]
	v_add_f64 v[14:15], v[22:23], v[14:15]
	v_fmac_f64_e32 v[34:35], s[24:25], v[194:195]
	v_add_f64 v[16:17], v[16:17], v[14:15]
	v_fmac_f64_e32 v[30:31], s[34:35], v[200:201]
	;; [unrolled: 2-line block ×3, first 2 shown]
	v_add_f64 v[14:15], v[30:31], v[14:15]
	v_mul_f64 v[34:35], v[202:203], s[38:39]
	v_fmac_f64_e32 v[178:179], s[0:1], v[214:215]
	v_add_f64 v[14:15], v[186:187], v[14:15]
	v_mul_f64 v[30:31], v[216:217], s[42:43]
	v_fma_f64 v[36:37], s[30:31], v[196:197], v[34:35]
	v_fmac_f64_e32 v[24:25], s[18:19], v[226:227]
	v_add_f64 v[14:15], v[178:179], v[14:15]
	s_mov_b32 s47, 0x3fcea1e5
	s_mov_b32 s46, s28
	v_mul_f64 v[26:27], v[232:233], s[16:17]
	v_fma_f64 v[32:33], s[6:7], v[204:205], v[30:31]
	v_add_f64 v[36:37], v[138:139], v[36:37]
	v_mul_f64 v[184:185], v[198:199], s[38:39]
	v_fmac_f64_e32 v[18:19], s[6:7], v[242:243]
	v_add_f64 v[14:15], v[24:25], v[14:15]
	v_mul_f64 v[22:23], v[244:245], s[46:47]
	v_fma_f64 v[28:29], s[0:1], v[212:213], v[26:27]
	v_add_f64 v[32:33], v[32:33], v[36:37]
	v_accvgpr_write_b32 a47, v41
	v_mul_f64 v[180:181], v[206:207], s[42:43]
	v_fma_f64 v[186:187], v[194:195], s[30:31], -v[184:185]
	v_add_f64 v[14:15], v[18:19], v[14:15]
	v_accvgpr_write_b32 a69, v17
	v_mul_f64 v[18:19], v[78:79], s[36:37]
	v_fma_f64 v[24:25], s[24:25], v[222:223], v[22:23]
	v_add_f64 v[28:29], v[28:29], v[32:33]
	v_accvgpr_write_b32 a46, v40
	v_accvgpr_write_b32 a45, v39
	;; [unrolled: 1-line block ×3, first 2 shown]
	v_mul_f64 v[38:39], v[220:221], s[16:17]
	v_fma_f64 v[182:183], v[200:201], s[6:7], -v[180:181]
	v_add_f64 v[186:187], v[136:137], v[186:187]
	v_accvgpr_write_b32 a68, v16
	v_accvgpr_write_b32 a67, v15
	;; [unrolled: 1-line block ×3, first 2 shown]
	v_mul_f64 v[14:15], v[2:3], s[26:27]
	v_fma_f64 v[20:21], s[34:35], v[238:239], v[18:19]
	v_add_f64 v[24:25], v[24:25], v[28:29]
	v_mul_f64 v[32:33], v[230:231], s[46:47]
	v_fma_f64 v[176:177], v[208:209], s[0:1], -v[38:39]
	v_add_f64 v[182:183], v[182:183], v[186:187]
	v_fma_f64 v[16:17], s[18:19], v[248:249], v[14:15]
	v_add_f64 v[20:21], v[20:21], v[24:25]
	v_mul_f64 v[24:25], v[252:253], s[36:37]
	v_fma_f64 v[36:37], v[214:215], s[24:25], -v[32:33]
	v_add_f64 v[176:177], v[176:177], v[182:183]
	v_add_f64 v[178:179], v[16:17], v[20:21]
	v_mul_f64 v[16:17], v[76:77], s[26:27]
	v_fma_f64 v[28:29], v[226:227], s[34:35], -v[24:25]
	v_add_f64 v[36:37], v[36:37], v[176:177]
	v_fma_f64 v[20:21], v[242:243], s[18:19], -v[16:17]
	v_add_f64 v[28:29], v[28:29], v[36:37]
	v_add_f64 v[176:177], v[20:21], v[28:29]
	v_fma_f64 v[28:29], v[196:197], s[30:31], -v[34:35]
	v_fma_f64 v[20:21], v[222:223], s[24:25], -v[22:23]
	;; [unrolled: 1-line block ×4, first 2 shown]
	v_add_f64 v[28:29], v[138:139], v[28:29]
	v_add_f64 v[26:27], v[26:27], v[28:29]
	;; [unrolled: 1-line block ×3, first 2 shown]
	v_fma_f64 v[18:19], v[238:239], s[34:35], -v[18:19]
	v_add_f64 v[20:21], v[20:21], v[22:23]
	v_fma_f64 v[14:15], v[248:249], s[18:19], -v[14:15]
	v_add_f64 v[18:19], v[18:19], v[20:21]
	v_fmac_f64_e32 v[184:185], s[30:31], v[194:195]
	v_add_f64 v[182:183], v[14:15], v[18:19]
	v_fmac_f64_e32 v[180:181], s[6:7], v[200:201]
	;; [unrolled: 2-line block ×3, first 2 shown]
	v_add_f64 v[14:15], v[180:181], v[14:15]
	v_mul_f64 v[34:35], v[202:203], s[26:27]
	v_fmac_f64_e32 v[32:33], s[24:25], v[214:215]
	v_add_f64 v[14:15], v[38:39], v[14:15]
	v_mul_f64 v[30:31], v[216:217], s[40:41]
	v_fma_f64 v[36:37], s[18:19], v[196:197], v[34:35]
	v_fma_f64 v[34:35], v[196:197], s[18:19], -v[34:35]
	v_add_f64 v[14:15], v[32:33], v[14:15]
	v_mul_f64 v[26:27], v[232:233], s[36:37]
	v_fma_f64 v[32:33], s[30:31], v[204:205], v[30:31]
	v_fma_f64 v[30:31], v[204:205], s[30:31], -v[30:31]
	v_add_f64 v[34:35], v[138:139], v[34:35]
	v_fmac_f64_e32 v[24:25], s[34:35], v[226:227]
	v_mul_f64 v[22:23], v[244:245], s[22:23]
	v_fma_f64 v[28:29], s[34:35], v[212:213], v[26:27]
	v_add_f64 v[30:31], v[30:31], v[34:35]
	v_fma_f64 v[26:27], v[212:213], s[34:35], -v[26:27]
	v_fmac_f64_e32 v[16:17], s[18:19], v[242:243]
	v_add_f64 v[14:15], v[24:25], v[14:15]
	v_mul_f64 v[18:19], v[78:79], s[46:47]
	v_fma_f64 v[24:25], s[6:7], v[222:223], v[22:23]
	v_add_f64 v[36:37], v[138:139], v[36:37]
	v_add_f64 v[26:27], v[26:27], v[30:31]
	v_fma_f64 v[22:23], v[222:223], s[6:7], -v[22:23]
	v_add_f64 v[180:181], v[16:17], v[14:15]
	v_mul_f64 v[14:15], v[2:3], s[44:45]
	v_fma_f64 v[20:21], s[24:25], v[238:239], v[18:19]
	v_add_f64 v[32:33], v[32:33], v[36:37]
	v_mul_f64 v[38:39], v[198:199], s[26:27]
	v_fma_f64 v[18:19], v[238:239], s[24:25], -v[18:19]
	v_add_f64 v[22:23], v[22:23], v[26:27]
	v_fma_f64 v[16:17], s[0:1], v[248:249], v[14:15]
	v_add_f64 v[28:29], v[28:29], v[32:33]
	v_mul_f64 v[32:33], v[206:207], s[40:41]
	v_fma_f64 v[184:185], v[194:195], s[18:19], -v[38:39]
	v_fma_f64 v[14:15], v[248:249], s[0:1], -v[14:15]
	v_add_f64 v[18:19], v[18:19], v[22:23]
	v_fmac_f64_e32 v[38:39], s[18:19], v[194:195]
	v_add_f64 v[24:25], v[24:25], v[28:29]
	v_mul_f64 v[28:29], v[220:221], s[36:37]
	v_fma_f64 v[36:37], v[200:201], s[30:31], -v[32:33]
	v_add_f64 v[184:185], v[136:137], v[184:185]
	v_add_f64 v[18:19], v[14:15], v[18:19]
	v_fmac_f64_e32 v[32:33], s[30:31], v[200:201]
	v_add_f64 v[14:15], v[136:137], v[38:39]
	v_add_f64 v[20:21], v[20:21], v[24:25]
	v_mul_f64 v[24:25], v[230:231], s[22:23]
	v_add_f64 v[36:37], v[36:37], v[184:185]
	v_fma_f64 v[184:185], v[208:209], s[34:35], -v[28:29]
	v_fmac_f64_e32 v[28:29], s[34:35], v[208:209]
	v_add_f64 v[14:15], v[32:33], v[14:15]
	v_add_f64 v[186:187], v[16:17], v[20:21]
	v_mul_f64 v[20:21], v[252:253], s[46:47]
	v_add_f64 v[36:37], v[184:185], v[36:37]
	v_fma_f64 v[184:185], v[214:215], s[6:7], -v[24:25]
	v_fmac_f64_e32 v[24:25], s[6:7], v[214:215]
	v_add_f64 v[14:15], v[28:29], v[14:15]
	v_mul_f64 v[16:17], v[76:77], s[44:45]
	v_add_f64 v[36:37], v[184:185], v[36:37]
	v_fma_f64 v[184:185], v[226:227], s[24:25], -v[20:21]
	v_fmac_f64_e32 v[20:21], s[24:25], v[226:227]
	v_add_f64 v[14:15], v[24:25], v[14:15]
	v_add_f64 v[36:37], v[184:185], v[36:37]
	v_fma_f64 v[184:185], v[242:243], s[0:1], -v[16:17]
	v_fmac_f64_e32 v[16:17], s[0:1], v[242:243]
	v_add_f64 v[14:15], v[20:21], v[14:15]
	v_accvgpr_read_b32 v24, a98
	v_add_f64 v[16:17], v[16:17], v[14:15]
	v_accvgpr_read_b32 v14, a110
	v_accvgpr_read_b32 v22, a102
	;; [unrolled: 1-line block ×6, first 2 shown]
	v_add_f64 v[24:25], v[236:237], -v[24:25]
	v_add_f64 v[8:9], v[8:9], -v[14:15]
	v_accvgpr_read_b32 v14, a108
	v_accvgpr_read_b32 v21, a107
	v_add_f64 v[22:23], v[192:193], -v[22:23]
	v_add_f64 v[24:25], v[138:139], v[24:25]
	v_accvgpr_read_b32 v15, a109
	v_add_f64 v[20:21], v[82:83], -v[20:21]
	v_add_f64 v[22:23], v[22:23], v[24:25]
	v_add_f64 v[14:15], v[174:175], -v[14:15]
	v_add_f64 v[20:21], v[20:21], v[22:23]
	v_mul_f64 v[30:31], v[2:3], s[38:39]
	v_add_f64 v[14:15], v[14:15], v[20:21]
	v_add_f64 v[12:13], v[12:13], -v[30:31]
	v_add_f64 v[8:9], v[8:9], v[14:15]
	v_accvgpr_read_b32 v22, a86
	v_add_f64 v[8:9], v[12:13], v[8:9]
	v_accvgpr_read_b32 v12, a104
	v_accvgpr_read_b32 v20, a90
	;; [unrolled: 1-line block ×6, first 2 shown]
	v_add_f64 v[22:23], v[22:23], v[228:229]
	v_add_f64 v[6:7], v[12:13], v[6:7]
	v_accvgpr_read_b32 v12, a100
	v_accvgpr_read_b32 v15, a97
	v_add_f64 v[20:21], v[20:21], v[250:251]
	v_add_f64 v[22:23], v[136:137], v[22:23]
	v_accvgpr_read_b32 v13, a101
	v_add_f64 v[14:15], v[14:15], v[190:191]
	v_add_f64 v[20:21], v[20:21], v[22:23]
	;; [unrolled: 3-line block ×3, first 2 shown]
	v_accvgpr_read_b32 v20, a80
	v_accvgpr_read_b32 v23, a77
	v_mul_f64 v[34:35], v[242:243], s[30:31]
	v_add_f64 v[12:13], v[12:13], v[14:15]
	v_accvgpr_read_b32 v14, a84
	v_accvgpr_read_b32 v21, a81
	v_add_f64 v[22:23], v[218:219], -v[22:23]
	v_add_f64 v[10:11], v[34:35], v[10:11]
	v_add_f64 v[6:7], v[6:7], v[12:13]
	v_accvgpr_read_b32 v12, a88
	v_accvgpr_read_b32 v15, a85
	v_add_f64 v[20:21], v[234:235], -v[20:21]
	v_add_f64 v[22:23], v[138:139], v[22:23]
	;; [unrolled: 5-line block ×3, first 2 shown]
	v_accvgpr_read_b32 v11, a93
	v_add_f64 v[12:13], v[80:81], -v[12:13]
	v_add_f64 v[14:15], v[14:15], v[20:21]
	v_mul_f64 v[40:41], v[2:3], s[36:37]
	v_add_f64 v[10:11], v[170:171], -v[10:11]
	v_add_f64 v[12:13], v[12:13], v[14:15]
	v_add_f64 v[4:5], v[4:5], -v[40:41]
	v_add_f64 v[10:11], v[10:11], v[12:13]
	v_accvgpr_read_b32 v22, a70
	v_accvgpr_read_b32 v24, a94
	v_add_f64 v[12:13], v[4:5], v[10:11]
	v_accvgpr_read_b32 v10, a82
	v_accvgpr_read_b32 v20, a72
	;; [unrolled: 1-line block ×7, first 2 shown]
	v_add_f64 v[22:23], v[22:23], v[24:25]
	s_mov_b32 s37, 0xbfddbe06
	v_add_f64 v[0:1], v[10:11], v[0:1]
	v_accvgpr_read_b32 v10, a78
	v_accvgpr_read_b32 v15, a75
	v_add_f64 v[20:21], v[20:21], v[224:225]
	v_add_f64 v[22:23], v[136:137], v[22:23]
	v_mul_f64 v[32:33], v[202:203], s[36:37]
	v_accvgpr_read_b32 v11, a79
	v_add_f64 v[14:15], v[14:15], v[240:241]
	v_add_f64 v[20:21], v[20:21], v[22:23]
	v_mul_f64 v[28:29], v[216:217], s[16:17]
	v_fma_f64 v[34:35], s[34:35], v[196:197], v[32:33]
	v_add_f64 v[10:11], v[10:11], v[254:255]
	v_add_f64 v[14:15], v[14:15], v[20:21]
	v_mul_f64 v[24:25], v[232:233], s[22:23]
	v_fma_f64 v[30:31], s[0:1], v[204:205], v[28:29]
	v_add_f64 v[34:35], v[138:139], v[34:35]
	v_add_f64 v[184:185], v[184:185], v[36:37]
	v_mul_f64 v[36:37], v[242:243], s[34:35]
	v_add_f64 v[10:11], v[10:11], v[14:15]
	v_mul_f64 v[20:21], v[244:245], s[26:27]
	v_fma_f64 v[26:27], s[6:7], v[212:213], v[24:25]
	v_add_f64 v[30:31], v[30:31], v[34:35]
	v_add_f64 v[4:5], v[36:37], v[172:173]
	;; [unrolled: 1-line block ×3, first 2 shown]
	v_mul_f64 v[14:15], v[78:79], s[38:39]
	v_fma_f64 v[22:23], s[18:19], v[222:223], v[20:21]
	v_add_f64 v[26:27], v[26:27], v[30:31]
	v_mul_f64 v[80:81], v[198:199], s[36:37]
	v_add_f64 v[10:11], v[4:5], v[0:1]
	v_mul_f64 v[4:5], v[2:3], s[28:29]
	v_fma_f64 v[2:3], s[30:31], v[238:239], v[14:15]
	v_add_f64 v[22:23], v[22:23], v[26:27]
	v_mov_b32_e32 v82, v42
	v_mov_b32_e32 v83, v43
	v_mul_f64 v[42:43], v[206:207], s[16:17]
	v_fma_f64 v[78:79], v[194:195], s[34:35], -v[80:81]
	v_add_f64 v[2:3], v[2:3], v[22:23]
	v_mul_f64 v[22:23], v[76:77], s[28:29]
	v_mul_f64 v[38:39], v[220:221], s[22:23]
	v_fma_f64 v[76:77], v[200:201], s[0:1], -v[42:43]
	v_add_f64 v[78:79], v[136:137], v[78:79]
	v_mul_f64 v[34:35], v[230:231], s[26:27]
	v_fma_f64 v[40:41], v[208:209], s[6:7], -v[38:39]
	v_add_f64 v[76:77], v[76:77], v[78:79]
	;; [unrolled: 3-line block ×3, first 2 shown]
	v_fma_f64 v[0:1], s[24:25], v[248:249], v[4:5]
	v_fma_f64 v[30:31], v[226:227], s[30:31], -v[26:27]
	v_add_f64 v[36:37], v[36:37], v[40:41]
	v_add_f64 v[2:3], v[0:1], v[2:3]
	v_fma_f64 v[0:1], v[242:243], s[24:25], -v[22:23]
	v_add_f64 v[30:31], v[30:31], v[36:37]
	v_add_f64 v[0:1], v[0:1], v[30:31]
	v_fma_f64 v[30:31], v[196:197], s[34:35], -v[32:33]
	v_fma_f64 v[28:29], v[204:205], s[0:1], -v[28:29]
	v_add_f64 v[30:31], v[138:139], v[30:31]
	v_fma_f64 v[24:25], v[212:213], s[6:7], -v[24:25]
	v_add_f64 v[28:29], v[28:29], v[30:31]
	;; [unrolled: 2-line block ×5, first 2 shown]
	v_fmac_f64_e32 v[80:81], s[34:35], v[194:195]
	v_add_f64 v[78:79], v[4:5], v[14:15]
	v_fmac_f64_e32 v[42:43], s[0:1], v[200:201]
	v_add_f64 v[4:5], v[136:137], v[80:81]
	;; [unrolled: 2-line block ×6, first 2 shown]
	v_add_f64 v[76:77], v[22:23], v[4:5]
	v_add_f64 v[4:5], v[138:139], v[126:127]
	;; [unrolled: 1-line block ×12, first 2 shown]
	v_mov_b32_e32 v43, v83
	v_mov_b32_e32 v42, v82
	v_add_f64 v[82:83], v[4:5], v[46:47]
	v_add_f64 v[4:5], v[136:137], v[124:125]
	;; [unrolled: 1-line block ×13, first 2 shown]
	v_lshlrev_b32_e32 v4, 4, v189
	v_accvgpr_read_b32 v38, a44
	ds_write_b128 v4, v[80:83]
	ds_write_b128 v4, v[76:79] offset:16
	ds_write_b128 v4, v[10:13] offset:32
	ds_write_b128 v4, v[6:9] offset:48
	ds_write_b128 v4, v[16:19] offset:64
	ds_write_b128 v4, v[180:183] offset:80
	ds_write_b128 v4, a[66:69] offset:96
	ds_write_b128 v4, v[48:51] offset:112
	v_accvgpr_read_b32 v48, a62
	ds_write_b128 v4, v[184:187] offset:144
	v_accvgpr_read_b32 v185, a7
	v_accvgpr_read_b32 v36, a26
	;; [unrolled: 1-line block ×10, first 2 shown]
	ds_write_b128 v4, v[176:179] offset:128
	v_accvgpr_read_b32 v179, a3
	v_accvgpr_read_b32 v178, a1
	;; [unrolled: 1-line block ×8, first 2 shown]
	ds_write_b128 v4, v[156:159] offset:160
	ds_write_b128 v4, v[152:155] offset:176
	;; [unrolled: 1-line block ×3, first 2 shown]
.LBB0_17:
	s_or_b64 exec, exec, s[20:21]
	v_accvgpr_read_b32 v25, a11
	v_accvgpr_read_b32 v24, a10
	s_waitcnt lgkmcnt(0)
	s_barrier
	ds_read_b128 v[0:3], v210 offset:12480
	ds_read_b128 v[4:7], v210
	ds_read_b128 v[8:11], v210 offset:2496
	ds_read_b128 v[12:15], v210 offset:14976
	;; [unrolled: 1-line block ×8, first 2 shown]
	v_accvgpr_read_b32 v23, a9
	v_accvgpr_read_b32 v22, a8
	s_waitcnt lgkmcnt(9)
	v_mul_f64 v[20:21], v[24:25], v[2:3]
	v_fmac_f64_e32 v[20:21], v[22:23], v[0:1]
	v_mul_f64 v[0:1], v[24:25], v[0:1]
	v_accvgpr_read_b32 v29, a19
	v_fma_f64 v[2:3], v[22:23], v[2:3], -v[0:1]
	s_waitcnt lgkmcnt(6)
	v_mul_f64 v[0:1], v[184:185], v[12:13]
	v_accvgpr_read_b32 v28, a18
	v_mul_f64 v[22:23], v[184:185], v[14:15]
	v_fma_f64 v[14:15], v[182:183], v[14:15], -v[0:1]
	s_waitcnt lgkmcnt(5)
	v_mul_f64 v[24:25], v[28:29], v[18:19]
	v_mul_f64 v[0:1], v[28:29], v[16:17]
	v_accvgpr_read_b32 v31, a15
	v_accvgpr_read_b32 v27, a17
	;; [unrolled: 1-line block ×5, first 2 shown]
	v_fmac_f64_e32 v[24:25], v[26:27], v[16:17]
	v_fma_f64 v[18:19], v[26:27], v[18:19], -v[0:1]
	v_accvgpr_read_b32 v29, a13
	v_accvgpr_read_b32 v28, a12
	s_waitcnt lgkmcnt(1)
	v_mul_f64 v[26:27], v[30:31], v[118:119]
	v_mul_f64 v[0:1], v[30:31], v[116:117]
	v_accvgpr_read_b32 v34, a22
	v_fmac_f64_e32 v[26:27], v[28:29], v[116:117]
	v_fma_f64 v[28:29], v[28:29], v[118:119], -v[0:1]
	v_accvgpr_read_b32 v33, a21
	v_accvgpr_read_b32 v32, a20
	s_waitcnt lgkmcnt(0)
	v_mul_f64 v[30:31], v[34:35], v[122:123]
	v_mul_f64 v[0:1], v[34:35], v[120:121]
	v_fmac_f64_e32 v[22:23], v[182:183], v[12:13]
	v_fmac_f64_e32 v[30:31], v[32:33], v[120:121]
	v_fma_f64 v[32:33], v[32:33], v[122:123], -v[0:1]
	v_add_f64 v[16:17], v[76:77], -v[24:25]
	v_add_f64 v[18:19], v[78:79], -v[18:19]
	;; [unrolled: 1-line block ×6, first 2 shown]
	v_fma_f64 v[20:21], v[76:77], 2.0, -v[16:17]
	v_fma_f64 v[22:23], v[78:79], 2.0, -v[18:19]
	v_add_f64 v[76:77], v[80:81], -v[26:27]
	v_add_f64 v[78:79], v[82:83], -v[28:29]
	;; [unrolled: 1-line block ×4, first 2 shown]
	v_accvgpr_read_b32 v26, a32
	v_fma_f64 v[4:5], v[4:5], 2.0, -v[0:1]
	v_fma_f64 v[6:7], v[6:7], 2.0, -v[2:3]
	;; [unrolled: 1-line block ×8, first 2 shown]
	v_accvgpr_read_b32 v28, a34
	v_accvgpr_read_b32 v29, a35
	s_barrier
	ds_write_b128 v178, v[4:7]
	ds_write_b128 v178, v[0:3] offset:208
	ds_write_b128 v179, v[8:11]
	ds_write_b128 v179, v[12:15] offset:208
	;; [unrolled: 2-line block ×5, first 2 shown]
	s_waitcnt lgkmcnt(0)
	s_barrier
	ds_read_b128 v[0:3], v210 offset:12480
	ds_read_b128 v[4:7], v210
	ds_read_b128 v[8:11], v210 offset:2496
	ds_read_b128 v[12:15], v210 offset:14976
	;; [unrolled: 1-line block ×8, first 2 shown]
	v_accvgpr_read_b32 v27, a33
	s_waitcnt lgkmcnt(9)
	v_mul_f64 v[24:25], v[28:29], v[2:3]
	v_fmac_f64_e32 v[24:25], v[26:27], v[0:1]
	v_mul_f64 v[0:1], v[28:29], v[0:1]
	v_accvgpr_read_b32 v28, a28
	v_accvgpr_read_b32 v30, a30
	;; [unrolled: 1-line block ×3, first 2 shown]
	v_fma_f64 v[2:3], v[26:27], v[2:3], -v[0:1]
	s_waitcnt lgkmcnt(6)
	v_mul_f64 v[26:27], v[30:31], v[14:15]
	v_mul_f64 v[0:1], v[30:31], v[12:13]
	v_accvgpr_read_b32 v30, a36
	v_accvgpr_read_b32 v29, a29
	;; [unrolled: 1-line block ×4, first 2 shown]
	v_fmac_f64_e32 v[26:27], v[28:29], v[12:13]
	v_fma_f64 v[14:15], v[28:29], v[14:15], -v[0:1]
	s_waitcnt lgkmcnt(5)
	v_mul_f64 v[28:29], v[32:33], v[18:19]
	v_mul_f64 v[0:1], v[32:33], v[16:17]
	v_accvgpr_read_b32 v32, a40
	v_accvgpr_read_b32 v31, a37
	;; [unrolled: 1-line block ×4, first 2 shown]
	v_fmac_f64_e32 v[28:29], v[30:31], v[16:17]
	v_fma_f64 v[18:19], v[30:31], v[18:19], -v[0:1]
	v_accvgpr_read_b32 v33, a41
	s_waitcnt lgkmcnt(1)
	v_mul_f64 v[30:31], v[34:35], v[114:115]
	v_mul_f64 v[0:1], v[34:35], v[112:113]
	v_fmac_f64_e32 v[30:31], v[32:33], v[112:113]
	v_fma_f64 v[32:33], v[32:33], v[114:115], -v[0:1]
	s_waitcnt lgkmcnt(0)
	v_mul_f64 v[0:1], v[40:41], v[116:117]
	v_mul_f64 v[34:35], v[40:41], v[118:119]
	v_fma_f64 v[36:37], v[38:39], v[118:119], -v[0:1]
	v_add_f64 v[0:1], v[4:5], -v[24:25]
	v_add_f64 v[2:3], v[6:7], -v[2:3]
	v_fmac_f64_e32 v[34:35], v[38:39], v[116:117]
	v_fma_f64 v[4:5], v[4:5], 2.0, -v[0:1]
	v_fma_f64 v[6:7], v[6:7], 2.0, -v[2:3]
	v_add_f64 v[12:13], v[8:9], -v[26:27]
	v_add_f64 v[14:15], v[10:11], -v[14:15]
	;; [unrolled: 1-line block ×6, first 2 shown]
	v_fma_f64 v[8:9], v[8:9], 2.0, -v[12:13]
	v_fma_f64 v[10:11], v[10:11], 2.0, -v[14:15]
	;; [unrolled: 1-line block ×6, first 2 shown]
	v_add_f64 v[32:33], v[80:81], -v[34:35]
	v_add_f64 v[34:35], v[82:83], -v[36:37]
	s_barrier
	ds_write_b128 v42, v[4:7]
	ds_write_b128 v42, v[0:3] offset:416
	ds_write_b128 v43, v[8:11]
	ds_write_b128 v43, v[12:15] offset:416
	;; [unrolled: 2-line block ×3, first 2 shown]
	v_accvgpr_read_b32 v0, a48
	v_fma_f64 v[36:37], v[80:81], 2.0, -v[32:33]
	v_fma_f64 v[38:39], v[82:83], 2.0, -v[34:35]
	ds_write_b128 v0, v[28:31]
	ds_write_b128 v0, v[24:27] offset:416
	v_accvgpr_read_b32 v0, a49
	ds_write_b128 v0, v[36:39]
	ds_write_b128 v0, v[32:35] offset:416
	s_waitcnt lgkmcnt(0)
	s_barrier
	ds_read_b128 v[0:3], v210
	ds_read_b128 v[6:9], v210 offset:2496
	ds_read_b128 v[10:13], v210 offset:4992
	;; [unrolled: 1-line block ×9, first 2 shown]
	s_waitcnt lgkmcnt(8)
	v_mul_f64 v[4:5], v[58:59], v[8:9]
	v_fmac_f64_e32 v[4:5], v[56:57], v[6:7]
	v_mul_f64 v[6:7], v[58:59], v[6:7]
	v_fma_f64 v[6:7], v[56:57], v[8:9], -v[6:7]
	s_waitcnt lgkmcnt(7)
	v_mul_f64 v[8:9], v[54:55], v[12:13]
	v_fmac_f64_e32 v[8:9], v[52:53], v[10:11]
	v_mul_f64 v[10:11], v[54:55], v[10:11]
	v_fma_f64 v[10:11], v[52:53], v[12:13], -v[10:11]
	s_waitcnt lgkmcnt(6)
	v_mul_f64 v[12:13], v[50:51], v[16:17]
	v_accvgpr_read_b32 v42, a50
	v_fmac_f64_e32 v[12:13], v[48:49], v[14:15]
	v_mul_f64 v[14:15], v[50:51], v[14:15]
	v_accvgpr_read_b32 v44, a52
	v_accvgpr_read_b32 v45, a53
	v_fma_f64 v[14:15], v[48:49], v[16:17], -v[14:15]
	v_accvgpr_read_b32 v43, a51
	s_waitcnt lgkmcnt(5)
	v_mul_f64 v[16:17], v[44:45], v[20:21]
	v_fmac_f64_e32 v[16:17], v[42:43], v[18:19]
	v_mul_f64 v[18:19], v[44:45], v[18:19]
	v_fma_f64 v[18:19], v[42:43], v[20:21], -v[18:19]
	s_waitcnt lgkmcnt(4)
	v_mul_f64 v[20:21], v[74:75], v[24:25]
	v_fmac_f64_e32 v[20:21], v[72:73], v[22:23]
	v_mul_f64 v[22:23], v[74:75], v[22:23]
	v_fma_f64 v[22:23], v[72:73], v[24:25], -v[22:23]
	;; [unrolled: 5-line block ×5, first 2 shown]
	v_add_f64 v[42:43], v[16:17], v[24:25]
	s_mov_b32 s20, 0x134454ff
	v_fma_f64 v[42:43], -0.5, v[42:43], v[0:1]
	v_add_f64 v[44:45], v[10:11], -v[34:35]
	s_mov_b32 s21, 0xbfee6f0e
	s_mov_b32 s18, 0x4755a5e
	s_mov_b32 s7, 0x3fee6f0e
	s_mov_b32 s6, s20
	v_fma_f64 v[46:47], s[20:21], v[44:45], v[42:43]
	v_add_f64 v[48:49], v[18:19], -v[26:27]
	s_mov_b32 s19, 0xbfe2cf23
	v_add_f64 v[50:51], v[8:9], -v[16:17]
	v_add_f64 v[52:53], v[32:33], -v[24:25]
	s_mov_b32 s16, 0x372fe950
	v_fmac_f64_e32 v[42:43], s[6:7], v[44:45]
	s_mov_b32 s1, 0x3fe2cf23
	s_mov_b32 s0, s18
	s_waitcnt lgkmcnt(0)
	v_mul_f64 v[36:37], v[86:87], v[40:41]
	v_fmac_f64_e32 v[46:47], s[18:19], v[48:49]
	v_add_f64 v[50:51], v[50:51], v[52:53]
	s_mov_b32 s17, 0x3fd3c6ef
	v_fmac_f64_e32 v[42:43], s[0:1], v[48:49]
	v_fmac_f64_e32 v[36:37], v[84:85], v[38:39]
	v_mul_f64 v[38:39], v[86:87], v[38:39]
	v_fmac_f64_e32 v[46:47], s[16:17], v[50:51]
	v_fmac_f64_e32 v[42:43], s[16:17], v[50:51]
	v_add_f64 v[50:51], v[8:9], v[32:33]
	v_fma_f64 v[38:39], v[84:85], v[40:41], -v[38:39]
	v_add_f64 v[40:41], v[0:1], v[8:9]
	v_fmac_f64_e32 v[0:1], -0.5, v[50:51]
	v_add_f64 v[40:41], v[40:41], v[16:17]
	v_fma_f64 v[50:51], s[6:7], v[48:49], v[0:1]
	v_add_f64 v[52:53], v[16:17], -v[8:9]
	v_add_f64 v[54:55], v[24:25], -v[32:33]
	v_fmac_f64_e32 v[0:1], s[20:21], v[48:49]
	v_add_f64 v[48:49], v[18:19], v[26:27]
	v_add_f64 v[40:41], v[40:41], v[24:25]
	v_fmac_f64_e32 v[50:51], s[18:19], v[44:45]
	v_add_f64 v[52:53], v[52:53], v[54:55]
	v_fmac_f64_e32 v[0:1], s[0:1], v[44:45]
	v_fma_f64 v[48:49], -0.5, v[48:49], v[2:3]
	v_add_f64 v[8:9], v[8:9], -v[32:33]
	v_add_f64 v[40:41], v[40:41], v[32:33]
	v_fmac_f64_e32 v[50:51], s[16:17], v[52:53]
	v_fmac_f64_e32 v[0:1], s[16:17], v[52:53]
	v_fma_f64 v[52:53], s[6:7], v[8:9], v[48:49]
	v_add_f64 v[16:17], v[16:17], -v[24:25]
	v_add_f64 v[24:25], v[10:11], -v[18:19]
	;; [unrolled: 1-line block ×3, first 2 shown]
	v_fmac_f64_e32 v[48:49], s[20:21], v[8:9]
	v_fmac_f64_e32 v[52:53], s[0:1], v[16:17]
	v_add_f64 v[24:25], v[24:25], v[32:33]
	v_fmac_f64_e32 v[48:49], s[18:19], v[16:17]
	v_fmac_f64_e32 v[52:53], s[16:17], v[24:25]
	;; [unrolled: 1-line block ×3, first 2 shown]
	v_add_f64 v[24:25], v[10:11], v[34:35]
	v_add_f64 v[44:45], v[2:3], v[10:11]
	v_fmac_f64_e32 v[2:3], -0.5, v[24:25]
	v_fma_f64 v[54:55], s[20:21], v[16:17], v[2:3]
	v_fmac_f64_e32 v[2:3], s[6:7], v[16:17]
	v_fmac_f64_e32 v[54:55], s[0:1], v[8:9]
	;; [unrolled: 1-line block ×3, first 2 shown]
	v_add_f64 v[8:9], v[4:5], v[12:13]
	v_add_f64 v[8:9], v[8:9], v[20:21]
	;; [unrolled: 1-line block ×4, first 2 shown]
	v_add_f64 v[10:11], v[18:19], -v[10:11]
	v_add_f64 v[18:19], v[26:27], -v[34:35]
	v_add_f64 v[32:33], v[8:9], v[36:37]
	v_add_f64 v[8:9], v[20:21], v[28:29]
	;; [unrolled: 1-line block ×4, first 2 shown]
	v_fma_f64 v[26:27], -0.5, v[8:9], v[4:5]
	v_add_f64 v[8:9], v[14:15], -v[38:39]
	v_fmac_f64_e32 v[54:55], s[16:17], v[10:11]
	v_fmac_f64_e32 v[2:3], s[16:17], v[10:11]
	v_fma_f64 v[18:19], s[20:21], v[8:9], v[26:27]
	v_add_f64 v[10:11], v[22:23], -v[30:31]
	v_add_f64 v[16:17], v[12:13], -v[20:21]
	;; [unrolled: 1-line block ×3, first 2 shown]
	v_fmac_f64_e32 v[26:27], s[6:7], v[8:9]
	v_fmac_f64_e32 v[18:19], s[18:19], v[10:11]
	v_add_f64 v[16:17], v[16:17], v[24:25]
	v_fmac_f64_e32 v[26:27], s[0:1], v[10:11]
	v_fmac_f64_e32 v[18:19], s[16:17], v[16:17]
	;; [unrolled: 1-line block ×3, first 2 shown]
	v_add_f64 v[16:17], v[12:13], v[36:37]
	v_fmac_f64_e32 v[4:5], -0.5, v[16:17]
	v_add_f64 v[44:45], v[44:45], v[34:35]
	v_fma_f64 v[34:35], s[6:7], v[10:11], v[4:5]
	v_fmac_f64_e32 v[4:5], s[20:21], v[10:11]
	v_fmac_f64_e32 v[34:35], s[18:19], v[8:9]
	;; [unrolled: 1-line block ×3, first 2 shown]
	v_add_f64 v[8:9], v[6:7], v[14:15]
	v_add_f64 v[8:9], v[8:9], v[22:23]
	;; [unrolled: 1-line block ×3, first 2 shown]
	v_add_f64 v[16:17], v[20:21], -v[12:13]
	v_add_f64 v[24:25], v[28:29], -v[36:37]
	v_add_f64 v[56:57], v[8:9], v[38:39]
	v_add_f64 v[8:9], v[22:23], v[30:31]
	;; [unrolled: 1-line block ×3, first 2 shown]
	v_fma_f64 v[58:59], -0.5, v[8:9], v[6:7]
	v_add_f64 v[8:9], v[12:13], -v[36:37]
	v_fmac_f64_e32 v[34:35], s[16:17], v[16:17]
	v_fmac_f64_e32 v[4:5], s[16:17], v[16:17]
	v_fma_f64 v[36:37], s[6:7], v[8:9], v[58:59]
	v_add_f64 v[10:11], v[20:21], -v[28:29]
	v_add_f64 v[12:13], v[14:15], -v[22:23]
	;; [unrolled: 1-line block ×3, first 2 shown]
	v_fmac_f64_e32 v[58:59], s[20:21], v[8:9]
	v_fmac_f64_e32 v[36:37], s[0:1], v[10:11]
	v_add_f64 v[12:13], v[12:13], v[16:17]
	v_fmac_f64_e32 v[58:59], s[18:19], v[10:11]
	v_fmac_f64_e32 v[36:37], s[16:17], v[12:13]
	;; [unrolled: 1-line block ×3, first 2 shown]
	v_add_f64 v[12:13], v[14:15], v[38:39]
	v_fmac_f64_e32 v[6:7], -0.5, v[12:13]
	v_fma_f64 v[28:29], s[20:21], v[10:11], v[6:7]
	v_add_f64 v[12:13], v[22:23], -v[14:15]
	v_add_f64 v[14:15], v[30:31], -v[38:39]
	v_fmac_f64_e32 v[6:7], s[6:7], v[10:11]
	v_fmac_f64_e32 v[28:29], s[0:1], v[8:9]
	v_add_f64 v[12:13], v[12:13], v[14:15]
	v_fmac_f64_e32 v[6:7], s[18:19], v[8:9]
	v_fmac_f64_e32 v[28:29], s[16:17], v[12:13]
	;; [unrolled: 1-line block ×3, first 2 shown]
	s_mov_b32 s22, 0x9b97f4a8
	v_mul_f64 v[30:31], v[36:37], s[18:19]
	s_mov_b32 s23, 0x3fe9e377
	v_mul_f64 v[38:39], v[28:29], s[20:21]
	v_mul_f64 v[60:61], v[6:7], s[20:21]
	s_mov_b32 s21, 0xbfd3c6ef
	s_mov_b32 s20, s16
	v_mul_f64 v[62:63], v[58:59], s[18:19]
	s_mov_b32 s19, 0xbfe9e377
	s_mov_b32 s18, s22
	v_mul_f64 v[64:65], v[36:37], s[22:23]
	v_mul_f64 v[66:67], v[28:29], s[16:17]
	;; [unrolled: 1-line block ×4, first 2 shown]
	v_fmac_f64_e32 v[30:31], s[22:23], v[18:19]
	v_fmac_f64_e32 v[38:39], s[16:17], v[34:35]
	v_fmac_f64_e32 v[60:61], s[20:21], v[4:5]
	v_fmac_f64_e32 v[62:63], s[18:19], v[26:27]
	v_fmac_f64_e32 v[64:65], s[0:1], v[18:19]
	v_fmac_f64_e32 v[66:67], s[6:7], v[34:35]
	v_fmac_f64_e32 v[68:69], s[6:7], v[4:5]
	v_fmac_f64_e32 v[58:59], s[0:1], v[26:27]
	v_add_f64 v[8:9], v[40:41], v[32:33]
	v_add_f64 v[12:13], v[46:47], v[30:31]
	;; [unrolled: 1-line block ×10, first 2 shown]
	v_add_f64 v[4:5], v[40:41], -v[32:33]
	v_add_f64 v[28:29], v[46:47], -v[30:31]
	;; [unrolled: 1-line block ×10, first 2 shown]
	s_barrier
	ds_write_b128 v211, v[8:11]
	ds_write_b128 v211, v[12:15] offset:832
	ds_write_b128 v211, v[16:19] offset:1664
	;; [unrolled: 1-line block ×9, first 2 shown]
	s_waitcnt lgkmcnt(0)
	s_barrier
	ds_read_b128 v[12:15], v210
	ds_read_b128 v[8:11], v210 offset:2496
	ds_read_b128 v[28:31], v210 offset:16640
	ds_read_b128 v[24:27], v210 offset:19136
	ds_read_b128 v[36:39], v210 offset:8320
	ds_read_b128 v[4:7], v210 offset:4992
	ds_read_b128 v[32:35], v210 offset:10816
	ds_read_b128 v[20:23], v210 offset:13312
	ds_read_b128 v[16:19], v210 offset:21632
	s_and_saveexec_b64 s[0:1], s[2:3]
	s_cbranch_execz .LBB0_19
; %bb.18:
	ds_read_b128 v[0:3], v210 offset:7488
	ds_read_b128 v[156:159], v210 offset:15808
	;; [unrolled: 1-line block ×3, first 2 shown]
.LBB0_19:
	s_or_b64 exec, exec, s[0:1]
	s_waitcnt lgkmcnt(4)
	v_mul_f64 v[40:41], v[90:91], v[38:39]
	v_fmac_f64_e32 v[40:41], v[88:89], v[36:37]
	v_mul_f64 v[36:37], v[90:91], v[36:37]
	v_fma_f64 v[36:37], v[88:89], v[38:39], -v[36:37]
	v_mul_f64 v[38:39], v[94:95], v[30:31]
	v_fmac_f64_e32 v[38:39], v[92:93], v[28:29]
	v_mul_f64 v[28:29], v[94:95], v[28:29]
	v_fma_f64 v[28:29], v[92:93], v[30:31], -v[28:29]
	s_waitcnt lgkmcnt(2)
	v_mul_f64 v[30:31], v[98:99], v[34:35]
	s_waitcnt lgkmcnt(0)
	v_mul_f64 v[48:49], v[110:111], v[18:19]
	v_fmac_f64_e32 v[30:31], v[96:97], v[32:33]
	v_mul_f64 v[32:33], v[98:99], v[32:33]
	v_mul_f64 v[44:45], v[106:107], v[22:23]
	v_fmac_f64_e32 v[48:49], v[108:109], v[16:17]
	v_mul_f64 v[16:17], v[110:111], v[16:17]
	v_fma_f64 v[32:33], v[96:97], v[34:35], -v[32:33]
	v_mul_f64 v[34:35], v[102:103], v[26:27]
	v_fmac_f64_e32 v[44:45], v[104:105], v[20:21]
	v_mul_f64 v[20:21], v[106:107], v[20:21]
	v_fma_f64 v[50:51], v[108:109], v[18:19], -v[16:17]
	v_add_f64 v[18:19], v[40:41], v[38:39]
	s_mov_b32 s0, 0xe8584caa
	v_fmac_f64_e32 v[34:35], v[100:101], v[24:25]
	v_mul_f64 v[24:25], v[102:103], v[24:25]
	v_fma_f64 v[46:47], v[104:105], v[22:23], -v[20:21]
	v_add_f64 v[16:17], v[12:13], v[40:41]
	v_fmac_f64_e32 v[12:13], -0.5, v[18:19]
	v_add_f64 v[18:19], v[36:37], -v[28:29]
	s_mov_b32 s1, 0xbfebb67a
	s_mov_b32 s7, 0x3febb67a
	;; [unrolled: 1-line block ×3, first 2 shown]
	v_add_f64 v[22:23], v[36:37], v[28:29]
	v_fma_f64 v[42:43], v[100:101], v[26:27], -v[24:25]
	v_fma_f64 v[20:21], s[0:1], v[18:19], v[12:13]
	v_fmac_f64_e32 v[12:13], s[6:7], v[18:19]
	v_add_f64 v[18:19], v[14:15], v[36:37]
	v_fmac_f64_e32 v[14:15], -0.5, v[22:23]
	v_add_f64 v[24:25], v[40:41], -v[38:39]
	v_add_f64 v[26:27], v[30:31], v[34:35]
	v_fma_f64 v[22:23], s[6:7], v[24:25], v[14:15]
	v_fmac_f64_e32 v[14:15], s[0:1], v[24:25]
	v_add_f64 v[24:25], v[8:9], v[30:31]
	v_fmac_f64_e32 v[8:9], -0.5, v[26:27]
	v_add_f64 v[26:27], v[32:33], -v[42:43]
	v_add_f64 v[18:19], v[18:19], v[28:29]
	v_fma_f64 v[28:29], s[0:1], v[26:27], v[8:9]
	v_fmac_f64_e32 v[8:9], s[6:7], v[26:27]
	v_add_f64 v[26:27], v[10:11], v[32:33]
	v_add_f64 v[32:33], v[32:33], v[42:43]
	;; [unrolled: 1-line block ×3, first 2 shown]
	v_fmac_f64_e32 v[10:11], -0.5, v[32:33]
	v_add_f64 v[32:33], v[30:31], -v[34:35]
	v_add_f64 v[34:35], v[44:45], v[48:49]
	v_add_f64 v[16:17], v[16:17], v[38:39]
	v_fma_f64 v[30:31], s[6:7], v[32:33], v[10:11]
	v_fmac_f64_e32 v[10:11], s[0:1], v[32:33]
	v_add_f64 v[32:33], v[4:5], v[44:45]
	v_fmac_f64_e32 v[4:5], -0.5, v[34:35]
	v_add_f64 v[34:35], v[46:47], -v[50:51]
	v_add_f64 v[38:39], v[46:47], v[50:51]
	v_fma_f64 v[36:37], s[0:1], v[34:35], v[4:5]
	v_fmac_f64_e32 v[4:5], s[6:7], v[34:35]
	v_add_f64 v[34:35], v[6:7], v[46:47]
	v_fmac_f64_e32 v[6:7], -0.5, v[38:39]
	v_add_f64 v[40:41], v[44:45], -v[48:49]
	v_add_f64 v[26:27], v[26:27], v[42:43]
	v_add_f64 v[32:33], v[32:33], v[48:49]
	v_add_f64 v[34:35], v[34:35], v[50:51]
	v_fma_f64 v[38:39], s[6:7], v[40:41], v[6:7]
	v_fmac_f64_e32 v[6:7], s[0:1], v[40:41]
	ds_write_b128 v210, v[16:19]
	ds_write_b128 v210, v[20:23] offset:8320
	ds_write_b128 v210, v[12:15] offset:16640
	;; [unrolled: 1-line block ×8, first 2 shown]
	s_and_saveexec_b64 s[16:17], s[2:3]
	s_cbranch_execz .LBB0_21
; %bb.20:
	v_accvgpr_read_b32 v12, a54
	v_accvgpr_read_b32 v14, a56
	;; [unrolled: 1-line block ×5, first 2 shown]
	v_mul_f64 v[4:5], v[14:15], v[156:157]
	v_accvgpr_read_b32 v20, a60
	v_accvgpr_read_b32 v21, a61
	v_fma_f64 v[6:7], v[12:13], v[158:159], -v[4:5]
	v_accvgpr_read_b32 v19, a59
	v_mul_f64 v[4:5], v[20:21], v[152:153]
	v_fma_f64 v[10:11], v[18:19], v[154:155], -v[4:5]
	v_mul_f64 v[14:15], v[14:15], v[158:159]
	v_mul_f64 v[16:17], v[20:21], v[154:155]
	v_add_f64 v[4:5], v[6:7], v[10:11]
	v_fmac_f64_e32 v[14:15], v[12:13], v[156:157]
	v_fmac_f64_e32 v[16:17], v[18:19], v[152:153]
	v_fma_f64 v[4:5], -0.5, v[4:5], v[2:3]
	v_add_f64 v[12:13], v[14:15], -v[16:17]
	v_add_f64 v[2:3], v[2:3], v[6:7]
	v_fma_f64 v[8:9], s[0:1], v[12:13], v[4:5]
	v_fmac_f64_e32 v[4:5], s[6:7], v[12:13]
	v_add_f64 v[12:13], v[2:3], v[10:11]
	v_add_f64 v[2:3], v[14:15], v[16:17]
	v_fma_f64 v[2:3], -0.5, v[2:3], v[0:1]
	v_add_f64 v[10:11], v[6:7], -v[10:11]
	v_add_f64 v[0:1], v[0:1], v[14:15]
	v_fma_f64 v[6:7], s[6:7], v[10:11], v[2:3]
	v_fmac_f64_e32 v[2:3], s[0:1], v[10:11]
	v_add_f64 v[10:11], v[0:1], v[16:17]
	ds_write_b128 v210, v[10:13] offset:7488
	ds_write_b128 v210, v[2:5] offset:15808
	;; [unrolled: 1-line block ×3, first 2 shown]
.LBB0_21:
	s_or_b64 exec, exec, s[16:17]
	s_waitcnt lgkmcnt(0)
	s_barrier
	s_and_b64 exec, exec, s[4:5]
	s_cbranch_execz .LBB0_23
; %bb.22:
	global_load_dwordx4 v[0:3], v188, s[14:15]
	global_load_dwordx4 v[4:7], v188, s[14:15] offset:1920
	global_load_dwordx4 v[16:19], v188, s[14:15] offset:3840
	v_mov_b32_e32 v189, 0
	s_movk_i32 s0, 0x1000
	v_lshl_add_u64 v[28:29], s[14:15], 0, v[188:189]
	v_add_co_u32_e32 v8, vcc, s0, v28
	v_mad_u64_u32 v[62:63], s[2:3], s8, v176, 0
	s_nop 0
	v_addc_co_u32_e32 v9, vcc, 0, v29, vcc
	global_load_dwordx4 v[12:15], v[8:9], off offset:1664
	s_movk_i32 s3, 0x2000
	global_load_dwordx4 v[8:11], v[8:9], off offset:3584
	v_add_co_u32_e32 v46, vcc, s3, v28
	ds_read_b128 v[30:33], v210
	s_nop 0
	v_addc_co_u32_e32 v47, vcc, 0, v29, vcc
	ds_read_b128 v[34:37], v188 offset:1920
	ds_read_b128 v[38:41], v188 offset:3840
	;; [unrolled: 1-line block ×4, first 2 shown]
	global_load_dwordx4 v[42:45], v[46:47], off offset:1408
	v_mad_u64_u32 v[60:61], s[0:1], s10, v180, 0
	v_mov_b32_e32 v48, v61
	v_mad_u64_u32 v[52:53], s[4:5], s11, v180, v[48:49]
	global_load_dwordx4 v[46:49], v[46:47], off offset:3328
	s_movk_i32 s6, 0x3000
	v_mov_b32_e32 v50, v63
	v_add_co_u32_e32 v64, vcc, s6, v28
	v_mad_u64_u32 v[50:51], s[4:5], s9, v176, v[50:51]
	s_nop 0
	v_addc_co_u32_e32 v65, vcc, 0, v29, vcc
	v_mov_b32_e32 v61, v52
	v_mov_b32_e32 v63, v50
	global_load_dwordx4 v[50:53], v[64:65], off offset:1152
	global_load_dwordx4 v[54:57], v[64:65], off offset:3072
	v_mov_b32_e32 v58, s12
	v_mov_b32_e32 v59, s13
	s_movk_i32 s3, 0x4000
	v_lshl_add_u64 v[58:59], v[60:61], 4, v[58:59]
	v_mov_b32_e32 v72, 0x780
	v_add_co_u32_e32 v66, vcc, s3, v28
	v_lshl_add_u64 v[58:59], v[62:63], 4, v[58:59]
	s_mov_b32 s0, 0x15015015
	s_mul_i32 s2, s9, 0x780
	v_addc_co_u32_e32 v67, vcc, 0, v29, vcc
	v_mad_u64_u32 v[60:61], s[4:5], s8, v72, v[58:59]
	s_mov_b32 s1, 0x3f450150
	v_add_u32_e32 v61, s2, v61
	v_mad_u64_u32 v[62:63], s[4:5], s8, v72, v[60:61]
	v_add_u32_e32 v63, s2, v63
	s_movk_i32 s3, 0x5000
	s_waitcnt vmcnt(8) lgkmcnt(4)
	v_mul_f64 v[64:65], v[32:33], v[2:3]
	v_mul_f64 v[2:3], v[30:31], v[2:3]
	s_waitcnt vmcnt(6) lgkmcnt(2)
	v_mul_f64 v[70:71], v[40:41], v[18:19]
	v_mul_f64 v[18:19], v[38:39], v[18:19]
	;; [unrolled: 1-line block ×4, first 2 shown]
	v_fmac_f64_e32 v[64:65], v[30:31], v[0:1]
	v_fma_f64 v[2:3], v[0:1], v[32:33], -v[2:3]
	v_fmac_f64_e32 v[70:71], v[38:39], v[16:17]
	v_fma_f64 v[32:33], v[16:17], v[40:41], -v[18:19]
	global_load_dwordx4 v[16:19], v[66:67], off offset:896
	v_fmac_f64_e32 v[68:69], v[34:35], v[4:5]
	v_fma_f64 v[6:7], v[4:5], v[36:37], -v[6:7]
	v_mul_f64 v[0:1], v[64:65], s[0:1]
	v_mul_f64 v[2:3], v[2:3], s[0:1]
	;; [unrolled: 1-line block ×6, first 2 shown]
	global_store_dwordx4 v[58:59], v[0:3], off
	global_store_dwordx4 v[60:61], v[4:7], off
	;; [unrolled: 1-line block ×3, first 2 shown]
	global_load_dwordx4 v[4:7], v[66:67], off offset:2816
	s_waitcnt vmcnt(10) lgkmcnt(1)
	v_mul_f64 v[2:3], v[24:25], v[14:15]
	v_mul_f64 v[0:1], v[26:27], v[14:15]
	v_fma_f64 v[2:3], v[12:13], v[26:27], -v[2:3]
	v_add_co_u32_e32 v26, vcc, s3, v28
	v_fmac_f64_e32 v[0:1], v[24:25], v[12:13]
	s_nop 0
	v_addc_co_u32_e32 v27, vcc, 0, v29, vcc
	global_load_dwordx4 v[12:15], v[26:27], off offset:640
	v_mad_u64_u32 v[24:25], s[4:5], s8, v72, v[62:63]
	v_mul_f64 v[0:1], v[0:1], s[0:1]
	v_mul_f64 v[2:3], v[2:3], s[0:1]
	v_add_u32_e32 v25, s2, v25
	global_store_dwordx4 v[24:25], v[0:3], off
	v_mad_u64_u32 v[24:25], s[4:5], s8, v72, v[24:25]
	s_waitcnt vmcnt(11) lgkmcnt(0)
	v_mul_f64 v[0:1], v[22:23], v[10:11]
	v_mul_f64 v[2:3], v[20:21], v[10:11]
	v_fmac_f64_e32 v[0:1], v[20:21], v[8:9]
	v_fma_f64 v[2:3], v[8:9], v[22:23], -v[2:3]
	ds_read_b128 v[8:11], v188 offset:9600
	v_mul_f64 v[0:1], v[0:1], s[0:1]
	v_mul_f64 v[2:3], v[2:3], s[0:1]
	v_add_u32_e32 v25, s2, v25
	global_store_dwordx4 v[24:25], v[0:3], off
	ds_read_b128 v[0:3], v188 offset:11520
	s_waitcnt vmcnt(11) lgkmcnt(1)
	v_mul_f64 v[20:21], v[10:11], v[44:45]
	v_fmac_f64_e32 v[20:21], v[8:9], v[42:43]
	v_mul_f64 v[8:9], v[8:9], v[44:45]
	v_fma_f64 v[8:9], v[42:43], v[10:11], -v[8:9]
	v_mul_f64 v[22:23], v[8:9], s[0:1]
	s_waitcnt vmcnt(10) lgkmcnt(0)
	v_mul_f64 v[8:9], v[2:3], v[48:49]
	v_fmac_f64_e32 v[8:9], v[0:1], v[46:47]
	v_mul_f64 v[0:1], v[0:1], v[48:49]
	v_mad_u64_u32 v[24:25], s[4:5], s8, v72, v[24:25]
	v_fma_f64 v[0:1], v[46:47], v[2:3], -v[0:1]
	v_mul_f64 v[20:21], v[20:21], s[0:1]
	v_add_u32_e32 v25, s2, v25
	v_mul_f64 v[10:11], v[0:1], s[0:1]
	ds_read_b128 v[0:3], v188 offset:13440
	global_store_dwordx4 v[24:25], v[20:23], off
	v_mad_u64_u32 v[24:25], s[4:5], s8, v72, v[24:25]
	v_mul_f64 v[8:9], v[8:9], s[0:1]
	v_add_u32_e32 v25, s2, v25
	global_store_dwordx4 v[24:25], v[8:11], off
	ds_read_b128 v[8:11], v188 offset:15360
	s_waitcnt vmcnt(11) lgkmcnt(1)
	v_mul_f64 v[20:21], v[2:3], v[52:53]
	v_fmac_f64_e32 v[20:21], v[0:1], v[50:51]
	v_mul_f64 v[0:1], v[0:1], v[52:53]
	v_fma_f64 v[0:1], v[50:51], v[2:3], -v[0:1]
	v_mul_f64 v[22:23], v[0:1], s[0:1]
	v_mad_u64_u32 v[24:25], s[4:5], s8, v72, v[24:25]
	s_waitcnt vmcnt(10) lgkmcnt(0)
	v_mul_f64 v[0:1], v[10:11], v[56:57]
	v_mul_f64 v[2:3], v[8:9], v[56:57]
	v_mul_f64 v[20:21], v[20:21], s[0:1]
	v_add_u32_e32 v25, s2, v25
	v_fmac_f64_e32 v[0:1], v[8:9], v[54:55]
	v_fma_f64 v[2:3], v[54:55], v[10:11], -v[2:3]
	ds_read_b128 v[8:11], v188 offset:17280
	global_store_dwordx4 v[24:25], v[20:23], off
	v_mad_u64_u32 v[24:25], s[4:5], s8, v72, v[24:25]
	v_mul_f64 v[0:1], v[0:1], s[0:1]
	v_mul_f64 v[2:3], v[2:3], s[0:1]
	v_add_u32_e32 v25, s2, v25
	global_store_dwordx4 v[24:25], v[0:3], off
	ds_read_b128 v[0:3], v188 offset:19200
	s_waitcnt vmcnt(11) lgkmcnt(1)
	v_mul_f64 v[20:21], v[10:11], v[18:19]
	v_fmac_f64_e32 v[20:21], v[8:9], v[16:17]
	v_mul_f64 v[8:9], v[8:9], v[18:19]
	v_fma_f64 v[8:9], v[16:17], v[10:11], -v[8:9]
	v_mul_f64 v[22:23], v[8:9], s[0:1]
	v_mad_u64_u32 v[16:17], s[4:5], s8, v72, v[24:25]
	v_mul_f64 v[20:21], v[20:21], s[0:1]
	s_waitcnt vmcnt(7) lgkmcnt(0)
	v_mul_f64 v[8:9], v[2:3], v[6:7]
	v_fmac_f64_e32 v[8:9], v[0:1], v[4:5]
	v_mul_f64 v[0:1], v[0:1], v[6:7]
	v_fma_f64 v[0:1], v[4:5], v[2:3], -v[0:1]
	v_mul_f64 v[10:11], v[0:1], s[0:1]
	ds_read_b128 v[0:3], v188 offset:21120
	ds_read_b128 v[4:7], v188 offset:23040
	v_add_u32_e32 v17, s2, v17
	global_store_dwordx4 v[16:17], v[20:23], off
	v_mad_u64_u32 v[16:17], s[4:5], s8, v72, v[16:17]
	v_mul_f64 v[8:9], v[8:9], s[0:1]
	v_add_u32_e32 v17, s2, v17
	global_store_dwordx4 v[16:17], v[8:11], off
	s_waitcnt vmcnt(8) lgkmcnt(1)
	s_nop 0
	v_mul_f64 v[8:9], v[2:3], v[14:15]
	v_fmac_f64_e32 v[8:9], v[0:1], v[12:13]
	v_mul_f64 v[0:1], v[0:1], v[14:15]
	v_fma_f64 v[0:1], v[12:13], v[2:3], -v[0:1]
	v_mad_u64_u32 v[12:13], s[4:5], s8, v72, v[16:17]
	v_mul_f64 v[8:9], v[8:9], s[0:1]
	v_mul_f64 v[10:11], v[0:1], s[0:1]
	v_add_u32_e32 v13, s2, v13
	global_store_dwordx4 v[12:13], v[8:11], off
	global_load_dwordx4 v[0:3], v[26:27], off offset:2560
	s_waitcnt vmcnt(0) lgkmcnt(0)
	v_mul_f64 v[8:9], v[6:7], v[2:3]
	v_mul_f64 v[2:3], v[4:5], v[2:3]
	v_fmac_f64_e32 v[8:9], v[4:5], v[0:1]
	v_fma_f64 v[0:1], v[0:1], v[6:7], -v[2:3]
	v_mul_f64 v[8:9], v[8:9], s[0:1]
	v_mul_f64 v[10:11], v[0:1], s[0:1]
	v_mad_u64_u32 v[0:1], s[0:1], s8, v72, v[12:13]
	v_add_u32_e32 v1, s2, v1
	global_store_dwordx4 v[0:1], v[8:11], off
.LBB0_23:
	s_endpgm
	.section	.rodata,"a",@progbits
	.p2align	6, 0x0
	.amdhsa_kernel bluestein_single_fwd_len1560_dim1_dp_op_CI_CI
		.amdhsa_group_segment_fixed_size 24960
		.amdhsa_private_segment_fixed_size 0
		.amdhsa_kernarg_size 104
		.amdhsa_user_sgpr_count 2
		.amdhsa_user_sgpr_dispatch_ptr 0
		.amdhsa_user_sgpr_queue_ptr 0
		.amdhsa_user_sgpr_kernarg_segment_ptr 1
		.amdhsa_user_sgpr_dispatch_id 0
		.amdhsa_user_sgpr_kernarg_preload_length 0
		.amdhsa_user_sgpr_kernarg_preload_offset 0
		.amdhsa_user_sgpr_private_segment_size 0
		.amdhsa_uses_dynamic_stack 0
		.amdhsa_enable_private_segment 0
		.amdhsa_system_sgpr_workgroup_id_x 1
		.amdhsa_system_sgpr_workgroup_id_y 0
		.amdhsa_system_sgpr_workgroup_id_z 0
		.amdhsa_system_sgpr_workgroup_info 0
		.amdhsa_system_vgpr_workitem_id 0
		.amdhsa_next_free_vgpr 368
		.amdhsa_next_free_sgpr 50
		.amdhsa_accum_offset 256
		.amdhsa_reserve_vcc 1
		.amdhsa_float_round_mode_32 0
		.amdhsa_float_round_mode_16_64 0
		.amdhsa_float_denorm_mode_32 3
		.amdhsa_float_denorm_mode_16_64 3
		.amdhsa_dx10_clamp 1
		.amdhsa_ieee_mode 1
		.amdhsa_fp16_overflow 0
		.amdhsa_tg_split 0
		.amdhsa_exception_fp_ieee_invalid_op 0
		.amdhsa_exception_fp_denorm_src 0
		.amdhsa_exception_fp_ieee_div_zero 0
		.amdhsa_exception_fp_ieee_overflow 0
		.amdhsa_exception_fp_ieee_underflow 0
		.amdhsa_exception_fp_ieee_inexact 0
		.amdhsa_exception_int_div_zero 0
	.end_amdhsa_kernel
	.text
.Lfunc_end0:
	.size	bluestein_single_fwd_len1560_dim1_dp_op_CI_CI, .Lfunc_end0-bluestein_single_fwd_len1560_dim1_dp_op_CI_CI
                                        ; -- End function
	.section	.AMDGPU.csdata,"",@progbits
; Kernel info:
; codeLenInByte = 20764
; NumSgprs: 56
; NumVgprs: 256
; NumAgprs: 112
; TotalNumVgprs: 368
; ScratchSize: 0
; MemoryBound: 0
; FloatMode: 240
; IeeeMode: 1
; LDSByteSize: 24960 bytes/workgroup (compile time only)
; SGPRBlocks: 6
; VGPRBlocks: 45
; NumSGPRsForWavesPerEU: 56
; NumVGPRsForWavesPerEU: 368
; AccumOffset: 256
; Occupancy: 1
; WaveLimiterHint : 1
; COMPUTE_PGM_RSRC2:SCRATCH_EN: 0
; COMPUTE_PGM_RSRC2:USER_SGPR: 2
; COMPUTE_PGM_RSRC2:TRAP_HANDLER: 0
; COMPUTE_PGM_RSRC2:TGID_X_EN: 1
; COMPUTE_PGM_RSRC2:TGID_Y_EN: 0
; COMPUTE_PGM_RSRC2:TGID_Z_EN: 0
; COMPUTE_PGM_RSRC2:TIDIG_COMP_CNT: 0
; COMPUTE_PGM_RSRC3_GFX90A:ACCUM_OFFSET: 63
; COMPUTE_PGM_RSRC3_GFX90A:TG_SPLIT: 0
	.text
	.p2alignl 6, 3212836864
	.fill 256, 4, 3212836864
	.type	__hip_cuid_6f75f8f82235a138,@object ; @__hip_cuid_6f75f8f82235a138
	.section	.bss,"aw",@nobits
	.globl	__hip_cuid_6f75f8f82235a138
__hip_cuid_6f75f8f82235a138:
	.byte	0                               ; 0x0
	.size	__hip_cuid_6f75f8f82235a138, 1

	.ident	"AMD clang version 19.0.0git (https://github.com/RadeonOpenCompute/llvm-project roc-6.4.0 25133 c7fe45cf4b819c5991fe208aaa96edf142730f1d)"
	.section	".note.GNU-stack","",@progbits
	.addrsig
	.addrsig_sym __hip_cuid_6f75f8f82235a138
	.amdgpu_metadata
---
amdhsa.kernels:
  - .agpr_count:     112
    .args:
      - .actual_access:  read_only
        .address_space:  global
        .offset:         0
        .size:           8
        .value_kind:     global_buffer
      - .actual_access:  read_only
        .address_space:  global
        .offset:         8
        .size:           8
        .value_kind:     global_buffer
      - .actual_access:  read_only
        .address_space:  global
        .offset:         16
        .size:           8
        .value_kind:     global_buffer
      - .actual_access:  read_only
        .address_space:  global
        .offset:         24
        .size:           8
        .value_kind:     global_buffer
      - .actual_access:  read_only
        .address_space:  global
        .offset:         32
        .size:           8
        .value_kind:     global_buffer
      - .offset:         40
        .size:           8
        .value_kind:     by_value
      - .address_space:  global
        .offset:         48
        .size:           8
        .value_kind:     global_buffer
      - .address_space:  global
        .offset:         56
        .size:           8
        .value_kind:     global_buffer
      - .address_space:  global
        .offset:         64
        .size:           8
        .value_kind:     global_buffer
      - .address_space:  global
        .offset:         72
        .size:           8
        .value_kind:     global_buffer
      - .offset:         80
        .size:           4
        .value_kind:     by_value
      - .address_space:  global
        .offset:         88
        .size:           8
        .value_kind:     global_buffer
      - .address_space:  global
        .offset:         96
        .size:           8
        .value_kind:     global_buffer
    .group_segment_fixed_size: 24960
    .kernarg_segment_align: 8
    .kernarg_segment_size: 104
    .language:       OpenCL C
    .language_version:
      - 2
      - 0
    .max_flat_workgroup_size: 156
    .name:           bluestein_single_fwd_len1560_dim1_dp_op_CI_CI
    .private_segment_fixed_size: 0
    .sgpr_count:     56
    .sgpr_spill_count: 0
    .symbol:         bluestein_single_fwd_len1560_dim1_dp_op_CI_CI.kd
    .uniform_work_group_size: 1
    .uses_dynamic_stack: false
    .vgpr_count:     368
    .vgpr_spill_count: 0
    .wavefront_size: 64
amdhsa.target:   amdgcn-amd-amdhsa--gfx950
amdhsa.version:
  - 1
  - 2
...

	.end_amdgpu_metadata
